;; amdgpu-corpus repo=ROCm/rocFFT kind=compiled arch=gfx1100 opt=O3
	.text
	.amdgcn_target "amdgcn-amd-amdhsa--gfx1100"
	.amdhsa_code_object_version 6
	.protected	bluestein_single_back_len3888_dim1_half_op_CI_CI ; -- Begin function bluestein_single_back_len3888_dim1_half_op_CI_CI
	.globl	bluestein_single_back_len3888_dim1_half_op_CI_CI
	.p2align	8
	.type	bluestein_single_back_len3888_dim1_half_op_CI_CI,@function
bluestein_single_back_len3888_dim1_half_op_CI_CI: ; @bluestein_single_back_len3888_dim1_half_op_CI_CI
; %bb.0:
	s_load_b128 s[4:7], s[0:1], 0x28
	v_mul_u32_u24_e32 v1, 0x195, v0
	s_mov_b32 s2, exec_lo
	v_mov_b32_e32 v2, 0
	s_delay_alu instid0(VALU_DEP_2) | instskip(NEXT) | instid1(VALU_DEP_1)
	v_lshrrev_b32_e32 v3, 17, v1
	v_add_nc_u32_e32 v1, s15, v3
	s_waitcnt lgkmcnt(0)
	s_delay_alu instid0(VALU_DEP_1)
	v_cmpx_gt_u64_e64 s[4:5], v[1:2]
	s_cbranch_execz .LBB0_15
; %bb.1:
	s_clause 0x1
	s_load_b64 s[14:15], s[0:1], 0x0
	s_load_b64 s[12:13], s[0:1], 0x38
	v_mul_lo_u16 v2, 0x144, v3
	s_delay_alu instid0(VALU_DEP_1) | instskip(NEXT) | instid1(VALU_DEP_1)
	v_sub_nc_u16 v0, v0, v2
	v_and_b32_e32 v58, 0xffff, v0
	v_cmp_gt_u16_e32 vcc_lo, 0xf3, v0
	s_delay_alu instid0(VALU_DEP_2)
	v_lshlrev_b32_e32 v0, 2, v58
	s_and_saveexec_b32 s3, vcc_lo
	s_cbranch_execz .LBB0_3
; %bb.2:
	s_load_b64 s[4:5], s[0:1], 0x18
	s_waitcnt lgkmcnt(0)
	v_add_co_u32 v12, s2, s14, v0
	s_delay_alu instid0(VALU_DEP_1)
	v_add_co_ci_u32_e64 v13, null, s15, 0, s2
	v_add_nc_u32_e32 v37, 0x1e40, v0
	v_add_nc_u32_e32 v38, 0x25e0, v0
	;; [unrolled: 1-line block ×4, first 2 shown]
	s_load_b128 s[8:11], s[4:5], 0x0
	s_clause 0x4
	global_load_b32 v14, v0, s[14:15]
	global_load_b32 v15, v0, s[14:15] offset:972
	global_load_b32 v16, v0, s[14:15] offset:1944
	;; [unrolled: 1-line block ×4, first 2 shown]
	s_waitcnt lgkmcnt(0)
	v_mad_u64_u32 v[2:3], null, s10, v1, 0
	v_mad_u64_u32 v[4:5], null, s8, v58, 0
	s_mul_hi_u32 s4, s8, 0x3cc
	s_mul_i32 s5, s8, 0x3cc
	s_delay_alu instid0(VALU_DEP_1) | instskip(SKIP_1) | instid1(VALU_DEP_1)
	v_mad_u64_u32 v[6:7], null, s11, v1, v[3:4]
	v_add_co_u32 v7, s2, 0x1000, v12
	v_add_co_ci_u32_e64 v8, s2, 0, v13, s2
	s_delay_alu instid0(VALU_DEP_3) | instskip(SKIP_2) | instid1(VALU_DEP_1)
	v_mad_u64_u32 v[9:10], null, s9, v58, v[5:6]
	v_mov_b32_e32 v3, v6
	v_add_co_u32 v10, s2, 0x2000, v12
	v_add_co_ci_u32_e64 v11, s2, 0, v13, s2
	s_delay_alu instid0(VALU_DEP_3) | instskip(SKIP_2) | instid1(VALU_DEP_1)
	v_lshlrev_b64 v[2:3], 2, v[2:3]
	v_mov_b32_e32 v5, v9
	v_add_co_u32 v12, s2, 0x3000, v12
	v_add_co_ci_u32_e64 v13, s2, 0, v13, s2
	s_delay_alu instid0(VALU_DEP_3) | instskip(SKIP_1) | instid1(VALU_DEP_1)
	v_lshlrev_b64 v[4:5], 2, v[4:5]
	v_add_co_u32 v2, s2, s6, v2
	v_add_co_ci_u32_e64 v3, s2, s7, v3, s2
	s_clause 0x3
	global_load_b32 v6, v[7:8], off offset:764
	global_load_b32 v9, v[7:8], off offset:1736
	;; [unrolled: 1-line block ×4, first 2 shown]
	v_add_co_u32 v2, s2, v2, v4
	s_delay_alu instid0(VALU_DEP_1)
	v_add_co_ci_u32_e64 v3, s2, v3, v5, s2
	s_mul_i32 s2, s9, 0x3cc
	s_clause 0x3
	global_load_b32 v8, v[10:11], off offset:556
	global_load_b32 v20, v[10:11], off offset:1528
	;; [unrolled: 1-line block ×4, first 2 shown]
	s_add_i32 s4, s4, s2
	global_load_b32 v11, v[2:3], off
	v_add_co_u32 v2, s2, v2, s5
	s_delay_alu instid0(VALU_DEP_1)
	v_add_co_ci_u32_e64 v3, s2, s4, v3, s2
	s_clause 0x2
	global_load_b32 v22, v[12:13], off offset:348
	global_load_b32 v23, v[12:13], off offset:1320
	;; [unrolled: 1-line block ×3, first 2 shown]
	v_add_co_u32 v4, s2, v2, s5
	s_delay_alu instid0(VALU_DEP_1) | instskip(SKIP_2) | instid1(VALU_DEP_1)
	v_add_co_ci_u32_e64 v5, s2, s4, v3, s2
	global_load_b32 v13, v[2:3], off
	v_add_co_u32 v2, s2, v4, s5
	v_add_co_ci_u32_e64 v3, s2, s4, v5, s2
	s_clause 0x1
	global_load_b32 v24, v[4:5], off
	global_load_b32 v25, v[2:3], off
	v_add_co_u32 v2, s2, v2, s5
	s_delay_alu instid0(VALU_DEP_1) | instskip(NEXT) | instid1(VALU_DEP_2)
	v_add_co_ci_u32_e64 v3, s2, s4, v3, s2
	v_add_co_u32 v4, s2, v2, s5
	s_delay_alu instid0(VALU_DEP_1) | instskip(SKIP_2) | instid1(VALU_DEP_1)
	v_add_co_ci_u32_e64 v5, s2, s4, v3, s2
	global_load_b32 v26, v[2:3], off
	v_add_co_u32 v2, s2, v4, s5
	v_add_co_ci_u32_e64 v3, s2, s4, v5, s2
	global_load_b32 v27, v[4:5], off
	global_load_b32 v28, v[2:3], off
	v_add_co_u32 v2, s2, v2, s5
	s_delay_alu instid0(VALU_DEP_1) | instskip(NEXT) | instid1(VALU_DEP_2)
	v_add_co_ci_u32_e64 v3, s2, s4, v3, s2
	v_add_co_u32 v4, s2, v2, s5
	s_delay_alu instid0(VALU_DEP_1) | instskip(SKIP_2) | instid1(VALU_DEP_1)
	v_add_co_ci_u32_e64 v5, s2, s4, v3, s2
	global_load_b32 v29, v[2:3], off
	v_add_co_u32 v2, s2, v4, s5
	v_add_co_ci_u32_e64 v3, s2, s4, v5, s2
	;; [unrolled: 11-line block ×3, first 2 shown]
	global_load_b32 v33, v[4:5], off
	v_add_co_u32 v4, s2, v2, s5
	s_delay_alu instid0(VALU_DEP_1) | instskip(SKIP_2) | instid1(VALU_DEP_1)
	v_add_co_ci_u32_e64 v5, s2, s4, v3, s2
	global_load_b32 v34, v[2:3], off
	v_add_co_u32 v2, s2, v4, s5
	v_add_co_ci_u32_e64 v3, s2, s4, v5, s2
	global_load_b32 v35, v[4:5], off
	v_add_co_u32 v4, s2, v2, s5
	s_delay_alu instid0(VALU_DEP_1)
	v_add_co_ci_u32_e64 v5, s2, s4, v3, s2
	global_load_b32 v2, v[2:3], off
	global_load_b32 v3, v[4:5], off
	v_add_nc_u32_e32 v4, 0x780, v0
	v_add_nc_u32_e32 v5, 0xf00, v0
	s_waitcnt vmcnt(31)
	v_lshrrev_b32_e32 v40, 16, v14
	s_waitcnt vmcnt(30)
	v_lshrrev_b32_e32 v41, 16, v15
	;; [unrolled: 2-line block ×14, first 2 shown]
	v_mul_f16_e32 v56, v40, v11
	s_waitcnt vmcnt(17)
	v_lshrrev_b32_e32 v54, 16, v22
	s_waitcnt vmcnt(16)
	v_lshrrev_b32_e32 v55, 16, v23
	v_mul_f16_e32 v40, v40, v52
	v_fma_f16 v52, v14, v52, -v56
	s_waitcnt vmcnt(15)
	v_lshrrev_b32_e32 v59, 16, v12
	s_waitcnt vmcnt(14)
	v_lshrrev_b32_e32 v57, 16, v13
	v_mul_f16_e32 v60, v41, v13
	v_fmac_f16_e32 v40, v14, v11
	s_delay_alu instid0(VALU_DEP_3)
	v_mul_f16_e32 v11, v41, v57
	s_waitcnt vmcnt(13)
	v_lshrrev_b32_e32 v14, 16, v24
	v_fma_f16 v41, v15, v57, -v60
	v_mul_f16_e32 v56, v42, v24
	v_pack_b32_f16 v40, v40, v52
	v_fmac_f16_e32 v11, v15, v13
	v_mul_f16_e32 v13, v42, v14
	s_waitcnt vmcnt(12)
	v_lshrrev_b32_e32 v15, 16, v25
	v_mul_f16_e32 v42, v43, v25
	v_fma_f16 v14, v16, v14, -v56
	v_pack_b32_f16 v11, v11, v41
	v_fmac_f16_e32 v13, v16, v24
	v_mul_f16_e32 v16, v43, v15
	s_waitcnt vmcnt(11)
	v_lshrrev_b32_e32 v24, 16, v26
	v_fma_f16 v15, v17, v15, -v42
	v_mul_f16_e32 v41, v44, v26
	ds_store_2addr_b32 v0, v40, v11 offset1:243
	v_pack_b32_f16 v11, v13, v14
	v_fmac_f16_e32 v16, v17, v25
	v_mul_f16_e32 v13, v44, v24
	s_waitcnt vmcnt(10)
	v_lshrrev_b32_e32 v14, 16, v27
	v_mul_f16_e32 v17, v45, v27
	v_fma_f16 v24, v18, v24, -v41
	v_pack_b32_f16 v15, v16, v15
	v_fmac_f16_e32 v13, v18, v26
	v_mul_f16_e32 v16, v45, v14
	v_fma_f16 v14, v6, v14, -v17
	s_waitcnt vmcnt(9)
	v_lshrrev_b32_e32 v17, 16, v28
	v_mul_f16_e32 v18, v46, v28
	ds_store_2addr_b32 v4, v11, v15 offset0:6 offset1:249
	v_pack_b32_f16 v4, v13, v24
	v_fmac_f16_e32 v16, v6, v27
	v_mul_f16_e32 v6, v46, v17
	s_waitcnt vmcnt(8)
	v_lshrrev_b32_e32 v11, 16, v29
	v_mul_f16_e32 v13, v47, v29
	v_fma_f16 v15, v9, v17, -v18
	v_pack_b32_f16 v14, v16, v14
	v_fmac_f16_e32 v6, v9, v28
	v_mul_f16_e32 v9, v47, v11
	v_fma_f16 v11, v19, v11, -v13
	s_waitcnt vmcnt(7)
	v_lshrrev_b32_e32 v13, 16, v30
	v_mul_f16_e32 v16, v48, v30
	ds_store_2addr_b32 v5, v4, v14 offset0:12 offset1:255
	v_pack_b32_f16 v4, v6, v15
	v_fmac_f16_e32 v9, v19, v29
	v_mul_f16_e32 v5, v48, v13
	s_waitcnt vmcnt(6)
	v_lshrrev_b32_e32 v6, 16, v31
	v_fma_f16 v13, v7, v13, -v16
	v_mul_f16_e32 v14, v49, v31
	v_pack_b32_f16 v9, v9, v11
	v_fmac_f16_e32 v5, v7, v30
	v_mul_f16_e32 v7, v49, v6
	s_waitcnt vmcnt(5)
	v_lshrrev_b32_e32 v11, 16, v32
	v_mul_f16_e32 v15, v50, v32
	v_fma_f16 v6, v8, v6, -v14
	v_pack_b32_f16 v5, v5, v13
	v_fmac_f16_e32 v7, v8, v31
	v_mul_f16_e32 v8, v50, v11
	v_fma_f16 v11, v20, v11, -v15
	s_waitcnt vmcnt(4)
	v_lshrrev_b32_e32 v13, 16, v33
	v_mul_f16_e32 v14, v51, v33
	v_pack_b32_f16 v6, v7, v6
	v_fmac_f16_e32 v8, v20, v32
	s_waitcnt vmcnt(3)
	v_lshrrev_b32_e32 v7, 16, v34
	v_mul_f16_e32 v15, v51, v13
	v_fma_f16 v13, v21, v13, -v14
	v_mul_f16_e32 v14, v53, v34
	v_pack_b32_f16 v8, v8, v11
	v_mul_f16_e32 v11, v53, v7
	s_waitcnt vmcnt(2)
	v_lshrrev_b32_e32 v16, 16, v35
	s_waitcnt vmcnt(0)
	v_lshrrev_b32_e32 v18, 16, v3
	v_fma_f16 v7, v10, v7, -v14
	v_mul_f16_e32 v14, v54, v35
	v_fmac_f16_e32 v11, v10, v34
	v_lshrrev_b32_e32 v10, 16, v2
	v_mul_f16_e32 v17, v54, v16
	v_fmac_f16_e32 v15, v21, v33
	v_fma_f16 v14, v22, v16, -v14
	v_mul_f16_e32 v16, v55, v2
	v_mul_f16_e32 v19, v55, v10
	;; [unrolled: 1-line block ×4, first 2 shown]
	v_fmac_f16_e32 v17, v22, v35
	v_fma_f16 v10, v23, v10, -v16
	v_fmac_f16_e32 v19, v23, v2
	v_fma_f16 v2, v12, v18, -v20
	v_fmac_f16_e32 v21, v12, v3
	v_pack_b32_f16 v3, v15, v13
	v_pack_b32_f16 v7, v11, v7
	v_pack_b32_f16 v11, v17, v14
	v_pack_b32_f16 v10, v19, v10
	v_pack_b32_f16 v2, v21, v2
	v_add_nc_u32_e32 v12, 0x3500, v0
	ds_store_2addr_b32 v36, v4, v9 offset0:2 offset1:245
	ds_store_2addr_b32 v37, v5, v6 offset0:8 offset1:251
	;; [unrolled: 1-line block ×5, first 2 shown]
.LBB0_3:
	s_or_b32 exec_lo, exec_lo, s3
	s_clause 0x1
	s_load_b64 s[4:5], s[0:1], 0x20
	s_load_b64 s[2:3], s[0:1], 0x8
	s_waitcnt lgkmcnt(0)
	s_barrier
	buffer_gl0_inv
                                        ; implicit-def: $vgpr2
                                        ; implicit-def: $vgpr16
                                        ; implicit-def: $vgpr6
                                        ; implicit-def: $vgpr14
                                        ; implicit-def: $vgpr4
                                        ; implicit-def: $vgpr12
                                        ; implicit-def: $vgpr8
                                        ; implicit-def: $vgpr10
	s_and_saveexec_b32 s0, vcc_lo
	s_cbranch_execz .LBB0_5
; %bb.4:
	v_add_nc_u32_e32 v4, 0x780, v0
	v_add_nc_u32_e32 v8, 0x16c0, v0
	;; [unrolled: 1-line block ×7, first 2 shown]
	ds_load_2addr_b32 v[2:3], v0 offset1:243
	ds_load_2addr_b32 v[4:5], v4 offset0:6 offset1:249
	ds_load_2addr_b32 v[6:7], v6 offset0:12 offset1:255
	;; [unrolled: 1-line block ×7, first 2 shown]
.LBB0_5:
	s_or_b32 exec_lo, exec_lo, s0
	s_waitcnt lgkmcnt(1)
	v_pk_add_f16 v28, v7, v15 neg_lo:[0,1] neg_hi:[0,1]
	v_pk_add_f16 v26, v6, v14 neg_lo:[0,1] neg_hi:[0,1]
	;; [unrolled: 1-line block ×4, first 2 shown]
	s_waitcnt lgkmcnt(0)
	v_pk_add_f16 v10, v8, v10 neg_lo:[0,1] neg_hi:[0,1]
	v_pk_add_f16 v17, v3, v17 neg_lo:[0,1] neg_hi:[0,1]
	;; [unrolled: 1-line block ×3, first 2 shown]
	v_lshrrev_b32_e32 v18, 16, v28
	v_lshrrev_b32_e32 v12, 16, v26
	;; [unrolled: 1-line block ×3, first 2 shown]
	v_pk_add_f16 v29, v5, v13 neg_lo:[0,1] neg_hi:[0,1]
	v_lshrrev_b32_e32 v13, 16, v10
	v_lshrrev_b32_e32 v15, 16, v27
	v_sub_f16_e32 v22, v17, v18
	v_lshrrev_b32_e32 v18, 16, v11
	v_sub_f16_e32 v21, v16, v12
	v_add_f16_e32 v19, v26, v14
	v_sub_f16_e32 v30, v27, v13
	v_lshrrev_b32_e32 v20, 16, v17
	v_add_f16_e32 v31, v10, v15
	v_lshrrev_b32_e32 v32, 16, v29
	v_sub_f16_e32 v34, v29, v18
	v_pk_fma_f16 v2, v2, 2.0, v16 op_sel_hi:[1,0,1] neg_lo:[0,0,1] neg_hi:[0,0,1]
	v_pk_fma_f16 v6, v6, 2.0, v26 op_sel_hi:[1,0,1] neg_lo:[0,0,1] neg_hi:[0,0,1]
	;; [unrolled: 1-line block ×4, first 2 shown]
	v_fma_f16 v13, v16, 2.0, -v21
	v_fma_f16 v12, v14, 2.0, -v19
	v_fma_f16 v24, v27, 2.0, -v30
	v_add_f16_e32 v23, v28, v20
	v_fma_f16 v33, v15, 2.0, -v31
	v_fma_f16 v14, v17, 2.0, -v22
	v_add_f16_e32 v35, v11, v32
	v_fma_f16 v36, v29, 2.0, -v34
	v_pk_fma_f16 v16, v3, 2.0, v17 op_sel_hi:[1,0,1] neg_lo:[0,0,1] neg_hi:[0,0,1]
	v_pk_fma_f16 v3, v7, 2.0, v28 op_sel_hi:[1,0,1] neg_lo:[0,0,1] neg_hi:[0,0,1]
	;; [unrolled: 1-line block ×3, first 2 shown]
	v_pk_add_f16 v8, v2, v6 neg_lo:[0,1] neg_hi:[0,1]
	v_pk_fma_f16 v6, v9, 2.0, v11 op_sel_hi:[1,0,1] neg_lo:[0,0,1] neg_hi:[0,0,1]
	v_pk_add_f16 v7, v4, v10 neg_lo:[0,1] neg_hi:[0,1]
	v_fma_f16 v15, v20, 2.0, -v23
	v_fmamk_f16 v20, v24, 0xb9a8, v13
	v_fmamk_f16 v18, v33, 0xb9a8, v12
	v_fma_f16 v32, v32, 2.0, -v35
	v_pk_add_f16 v27, v16, v3 neg_lo:[0,1] neg_hi:[0,1]
	v_pk_add_f16 v10, v5, v6 neg_lo:[0,1] neg_hi:[0,1]
	v_lshrrev_b32_e32 v11, 16, v7
	v_fmamk_f16 v9, v36, 0xb9a8, v14
	v_fmamk_f16 v25, v30, 0x39a8, v21
	v_fmac_f16_e32 v20, 0xb9a8, v33
	v_fmac_f16_e32 v18, 0x39a8, v24
	v_fmamk_f16 v24, v31, 0x39a8, v19
	v_lshrrev_b32_e32 v6, 16, v8
	v_sub_f16_e32 v28, v8, v11
	v_fmamk_f16 v26, v32, 0xb9a8, v15
	v_fmac_f16_e32 v9, 0xb9a8, v32
	v_lshrrev_b32_e32 v11, 16, v10
	v_lshrrev_b32_e32 v29, 16, v27
	v_fmamk_f16 v33, v34, 0x39a8, v22
	v_fmamk_f16 v32, v35, 0x39a8, v23
	v_fmac_f16_e32 v25, 0xb9a8, v31
	v_fmac_f16_e32 v24, 0x39a8, v30
	v_pk_fma_f16 v3, v2, 2.0, v8 op_sel_hi:[1,0,1] neg_lo:[0,0,1] neg_hi:[0,0,1]
	v_pk_fma_f16 v2, v4, 2.0, v7 op_sel_hi:[1,0,1] neg_lo:[0,0,1] neg_hi:[0,0,1]
	;; [unrolled: 1-line block ×4, first 2 shown]
	v_add_f16_e32 v7, v7, v6
	v_fmac_f16_e32 v26, 0x39a8, v36
	v_sub_f16_e32 v31, v27, v11
	v_add_f16_e32 v30, v10, v29
	v_fmac_f16_e32 v33, 0xb9a8, v35
	v_fmac_f16_e32 v32, 0x39a8, v34
	v_pk_add_f16 v2, v3, v2 neg_lo:[0,1] neg_hi:[0,1]
	v_pk_add_f16 v5, v4, v5 neg_lo:[0,1] neg_hi:[0,1]
	v_fmamk_f16 v11, v9, 0x361f, v20
	v_fmamk_f16 v65, v26, 0x361f, v18
	;; [unrolled: 1-line block ×6, first 2 shown]
	v_pk_add_f16 v10, v2, v5 op_sel:[0,1] op_sel_hi:[1,0] neg_lo:[0,1] neg_hi:[0,1]
	v_pk_add_f16 v80, v2, v5 op_sel:[0,1] op_sel_hi:[1,0]
	v_fmac_f16_e32 v11, 0xbb64, v26
	v_fmac_f16_e32 v65, 0x3b64, v9
	;; [unrolled: 1-line block ×6, first 2 shown]
	v_lshlrev_b16 v60, 4, v58
	s_barrier
	buffer_gl0_inv
	s_and_saveexec_b32 s0, vcc_lo
	s_cbranch_execz .LBB0_7
; %bb.6:
	v_fma_f16 v34, v21, 2.0, -v25
	v_fma_f16 v22, v22, 2.0, -v33
	;; [unrolled: 1-line block ×6, first 2 shown]
	v_fmamk_f16 v36, v22, 0xb61f, v34
	v_fma_f16 v8, v8, 2.0, -v28
	v_fma_f16 v24, v27, 2.0, -v31
	;; [unrolled: 1-line block ×4, first 2 shown]
	v_fmac_f16_e32 v36, 0xbb64, v23
	v_fmamk_f16 v23, v23, 0xb61f, v19
	v_fma_f16 v9, v14, 2.0, -v9
	v_fma_f16 v14, v15, 2.0, -v26
	;; [unrolled: 1-line block ×4, first 2 shown]
	v_fmac_f16_e32 v23, 0x3b64, v22
	v_fma_f16 v31, v7, 2.0, -v67
	v_fmamk_f16 v32, v24, 0xb9a8, v8
	v_fma_f16 v29, v20, 2.0, -v11
	v_fma_f16 v30, v18, 2.0, -v65
	v_fma_f16 v7, v19, 2.0, -v23
	v_fmamk_f16 v18, v9, 0xbb64, v13
	v_fmamk_f16 v19, v14, 0xbb64, v12
	;; [unrolled: 1-line block ×3, first 2 shown]
	v_fmac_f16_e32 v32, 0xb9a8, v25
	v_pk_fma_f16 v15, v3, 2.0, v2 op_sel_hi:[1,0,1] neg_lo:[0,0,1] neg_hi:[0,0,1]
	v_pk_fma_f16 v3, v4, 2.0, v5 op_sel_hi:[1,0,1] neg_lo:[0,0,1] neg_hi:[0,0,1]
	v_fmac_f16_e32 v18, 0xb61f, v14
	v_fmac_f16_e32 v19, 0x361f, v9
	;; [unrolled: 1-line block ×3, first 2 shown]
	v_fma_f16 v27, v28, 2.0, -v16
	v_fma_f16 v28, v34, 2.0, -v36
	;; [unrolled: 1-line block ×3, first 2 shown]
	v_and_b32_e32 v4, 0xffff, v60
	v_pk_add_f16 v3, v15, v3 neg_lo:[0,1] neg_hi:[0,1]
	v_fma_f16 v5, v13, 2.0, -v18
	v_fma_f16 v9, v12, 2.0, -v19
	;; [unrolled: 1-line block ×3, first 2 shown]
	v_bfi_b32 v21, 0xffff, v10, v80
	v_lshlrev_b32_e32 v34, 2, v4
	v_pk_fma_f16 v12, v15, 2.0, v3 op_sel_hi:[1,0,1] neg_lo:[0,0,1] neg_hi:[0,0,1]
	v_pack_b32_f16 v15, v28, v7
	v_pack_b32_f16 v13, v5, v9
	;; [unrolled: 1-line block ×3, first 2 shown]
	v_pk_fma_f16 v25, v2, 2.0, v21 op_sel_hi:[1,0,1] neg_lo:[0,0,1] neg_hi:[0,0,1]
	v_pack_b32_f16 v28, v33, v35
	v_pack_b32_f16 v27, v27, v31
	;; [unrolled: 1-line block ×6, first 2 shown]
	v_perm_b32 v24, v66, v17, 0x5040100
	v_perm_b32 v23, v67, v16, 0x5040100
	;; [unrolled: 1-line block ×3, first 2 shown]
	ds_store_b128 v34, v[12:15]
	ds_store_b128 v34, v[25:28] offset:16
	ds_store_b128 v34, v[3:6] offset:32
	;; [unrolled: 1-line block ×3, first 2 shown]
.LBB0_7:
	s_or_b32 exec_lo, exec_lo, s0
	v_and_b32_e32 v12, 15, v58
	v_add_co_u32 v42, s0, 0x144, v58
	v_add_co_u32 v41, null, 0x288, v58
	v_add_co_u32 v40, null, 0x3cc, v58
	s_delay_alu instid0(VALU_DEP_4) | instskip(NEXT) | instid1(VALU_DEP_4)
	v_lshlrev_b32_e32 v2, 3, v12
	v_and_b32_e32 v13, 15, v42
	s_delay_alu instid0(VALU_DEP_4) | instskip(NEXT) | instid1(VALU_DEP_4)
	v_and_b32_e32 v14, 15, v41
	v_and_b32_e32 v15, 15, v40
	s_load_b128 s[4:7], s[4:5], 0x0
	s_waitcnt lgkmcnt(0)
	s_barrier
	buffer_gl0_inv
	global_load_b64 v[4:5], v2, s[2:3]
	v_lshlrev_b32_e32 v2, 3, v13
	v_lshlrev_b32_e32 v3, 3, v14
	;; [unrolled: 1-line block ×3, first 2 shown]
	s_clause 0x2
	global_load_b64 v[8:9], v2, s[2:3]
	global_load_b64 v[6:7], v3, s[2:3]
	;; [unrolled: 1-line block ×3, first 2 shown]
	v_and_b32_e32 v22, 0xffff, v58
	v_lshrrev_b32_e32 v18, 4, v58
	v_lshrrev_b32_e32 v19, 4, v42
	;; [unrolled: 1-line block ×4, first 2 shown]
	v_lshlrev_b32_e32 v59, 2, v22
	ds_load_b32 v28, v59
	ds_load_b32 v29, v59 offset:1296
	ds_load_b32 v31, v59 offset:2592
	;; [unrolled: 1-line block ×11, first 2 shown]
	v_mul_u32_u24_e32 v18, 48, v18
	v_and_b32_e32 v25, 0xffff, v42
	v_mul_u32_u24_e32 v23, 0xaaab, v22
	v_and_b32_e32 v26, 0xffff, v41
	v_and_b32_e32 v27, 0xffff, v40
	v_or_b32_e32 v12, v18, v12
	v_mul_u32_u24_e32 v18, 48, v19
	v_mul_u32_u24_e32 v19, 48, v20
	;; [unrolled: 1-line block ×4, first 2 shown]
	v_lshlrev_b32_e32 v64, 2, v12
	v_or_b32_e32 v12, v18, v13
	v_or_b32_e32 v13, v19, v14
	;; [unrolled: 1-line block ×3, first 2 shown]
	s_waitcnt lgkmcnt(5)
	v_lshrrev_b32_e32 v19, 16, v35
	v_lshrrev_b32_e32 v52, 16, v34
	s_waitcnt lgkmcnt(3)
	v_lshrrev_b32_e32 v20, 16, v37
	s_waitcnt lgkmcnt(2)
	;; [unrolled: 2-line block ×4, first 2 shown]
	v_lshrrev_b32_e32 v69, 16, v43
	v_lshrrev_b32_e32 v55, 16, v32
	;; [unrolled: 1-line block ×3, first 2 shown]
	v_mul_u32_u24_e32 v23, 0xaaab, v26
	v_lshrrev_b32_e32 v68, 16, v33
	v_mul_u32_u24_e32 v24, 0xaaab, v27
	v_lshrrev_b32_e32 v18, 16, v28
	v_lshrrev_b32_e32 v45, 21, v21
	v_mul_lo_u16 v15, v44, 48
	v_lshrrev_b32_e32 v46, 21, v23
	v_lshrrev_b32_e32 v47, 21, v24
	;; [unrolled: 1-line block ×4, first 2 shown]
	v_lshlrev_b32_e32 v62, 2, v12
	v_mul_lo_u16 v12, v45, 48
	v_lshlrev_b32_e32 v61, 2, v13
	v_sub_nc_u16 v48, v58, v15
	v_mul_lo_u16 v13, v46, 48
	v_mul_lo_u16 v15, v47, 48
	v_lshrrev_b32_e32 v54, 16, v31
	v_sub_nc_u16 v49, v42, v12
	v_lshlrev_b32_e32 v63, 2, v14
	v_lshlrev_b16 v14, 3, v48
	v_sub_nc_u16 v50, v41, v13
	v_sub_nc_u16 v51, v40, v15
	v_lshlrev_b16 v12, 3, v49
	v_add_co_ci_u32_e64 v30, null, 0, 0, s0
	v_and_b32_e32 v13, 0xffff, v14
	v_lshlrev_b16 v14, 3, v50
	v_lshlrev_b16 v15, 3, v51
	v_and_b32_e32 v23, 0xffff, v12
	s_waitcnt vmcnt(0)
	v_add_co_u32 v12, s0, s2, v13
	v_and_b32_e32 v24, 0xffff, v14
	s_barrier
	buffer_gl0_inv
	v_add_co_ci_u32_e64 v13, null, s3, 0, s0
	v_and_b32_e32 v70, 0xffff, v15
	v_add_co_u32 v14, s0, s2, v23
	s_delay_alu instid0(VALU_DEP_1) | instskip(SKIP_1) | instid1(VALU_DEP_1)
	v_add_co_ci_u32_e64 v15, null, s3, 0, s0
	v_add_co_u32 v23, s0, s2, v24
	v_add_co_ci_u32_e64 v24, null, s3, 0, s0
	v_mul_u32_u24_e32 v22, 0xe38f, v22
	v_lshrrev_b32_e32 v79, 16, v4
	v_lshrrev_b32_e32 v77, 16, v5
	v_lshrrev_b32_e32 v78, 16, v8
	s_delay_alu instid0(VALU_DEP_3) | instskip(SKIP_1) | instid1(VALU_DEP_4)
	v_mul_f16_e32 v71, v19, v79
	v_mul_f16_e32 v81, v35, v79
	;; [unrolled: 1-line block ×4, first 2 shown]
	v_lshrrev_b32_e32 v76, 16, v9
	v_lshrrev_b32_e32 v75, 16, v6
	;; [unrolled: 1-line block ×5, first 2 shown]
	v_fma_f16 v35, v35, v4, -v71
	v_fmac_f16_e32 v81, v19, v4
	v_fma_f16 v19, v37, v5, -v82
	v_fmac_f16_e32 v83, v20, v5
	v_mul_f16_e32 v20, v52, v78
	v_mul_f16_e32 v37, v34, v78
	;; [unrolled: 1-line block ×12, first 2 shown]
	v_fma_f16 v20, v34, v8, -v20
	v_fmac_f16_e32 v37, v52, v8
	v_fma_f16 v34, v38, v9, -v71
	v_fmac_f16_e32 v82, v53, v9
	v_fmac_f16_e32 v85, v55, v6
	v_fma_f16 v38, v39, v7, -v86
	v_fmac_f16_e32 v87, v56, v7
	;; [unrolled: 3-line block ×3, first 2 shown]
	v_add_f16_e32 v43, v28, v35
	v_add_f16_e32 v52, v35, v19
	;; [unrolled: 1-line block ×4, first 2 shown]
	v_fma_f16 v32, v32, v6, -v84
	v_fma_f16 v33, v33, v2, -v88
	v_sub_f16_e32 v53, v81, v83
	v_sub_f16_e32 v35, v35, v19
	v_add_f16_e32 v19, v43, v19
	v_fmac_f16_e32 v28, -0.5, v52
	v_add_f16_e32 v43, v55, v83
	v_fmac_f16_e32 v18, -0.5, v56
	v_add_f16_e32 v55, v20, v34
	v_sub_f16_e32 v56, v37, v82
	v_add_f16_e32 v68, v21, v37
	v_add_f16_e32 v37, v37, v82
	v_sub_f16_e32 v88, v89, v91
	v_add_f16_e32 v90, v57, v89
	v_add_f16_e32 v89, v89, v91
	v_add_f16_e32 v71, v32, v38
	v_add_f16_e32 v84, v85, v87
	v_add_f16_e32 v86, v33, v39
	v_add_f16_e32 v52, v29, v20
	v_sub_f16_e32 v20, v20, v34
	v_sub_f16_e32 v81, v85, v87
	v_add_f16_e32 v83, v54, v85
	v_add_f16_e32 v85, v36, v33
	v_sub_f16_e32 v33, v33, v39
	v_fmamk_f16 v92, v53, 0x3aee, v28
	v_fmac_f16_e32 v28, 0xbaee, v53
	v_fmamk_f16 v53, v35, 0xbaee, v18
	v_fmac_f16_e32 v29, -0.5, v55
	v_fmac_f16_e32 v21, -0.5, v37
	v_fmac_f16_e32 v57, -0.5, v89
	v_fmac_f16_e32 v18, 0x3aee, v35
	v_add_f16_e32 v69, v31, v32
	v_sub_f16_e32 v32, v32, v38
	v_fmac_f16_e32 v31, -0.5, v71
	v_fmac_f16_e32 v54, -0.5, v84
	;; [unrolled: 1-line block ×3, first 2 shown]
	v_add_f16_e32 v34, v52, v34
	v_add_f16_e32 v35, v68, v82
	v_pack_b32_f16 v19, v19, v43
	v_fmamk_f16 v43, v56, 0x3aee, v29
	v_fmamk_f16 v55, v20, 0xbaee, v21
	;; [unrolled: 1-line block ×3, first 2 shown]
	v_fmac_f16_e32 v57, 0x3aee, v33
	v_pack_b32_f16 v33, v92, v53
	v_fmac_f16_e32 v29, 0xbaee, v56
	v_fmac_f16_e32 v21, 0x3aee, v20
	v_pack_b32_f16 v18, v28, v18
	v_add_f16_e32 v37, v69, v38
	v_add_f16_e32 v38, v83, v87
	v_fmamk_f16 v20, v81, 0x3aee, v31
	v_fmamk_f16 v56, v32, 0xbaee, v54
	v_fmac_f16_e32 v31, 0xbaee, v81
	v_fmac_f16_e32 v54, 0x3aee, v32
	v_add_f16_e32 v39, v85, v39
	v_add_f16_e32 v52, v90, v91
	v_fmamk_f16 v32, v88, 0x3aee, v36
	v_fmac_f16_e32 v36, 0xbaee, v88
	v_pack_b32_f16 v28, v34, v35
	ds_store_2addr_b32 v64, v19, v33 offset1:16
	ds_store_b32 v64, v18 offset:128
	v_pack_b32_f16 v18, v43, v55
	v_pack_b32_f16 v19, v29, v21
	;; [unrolled: 1-line block ×8, first 2 shown]
	ds_store_2addr_b32 v62, v28, v18 offset1:16
	ds_store_b32 v62, v19 offset:128
	ds_store_2addr_b32 v61, v34, v20 offset1:16
	ds_store_b32 v61, v21 offset:128
	;; [unrolled: 2-line block ×3, first 2 shown]
	s_waitcnt lgkmcnt(0)
	s_barrier
	buffer_gl0_inv
	global_load_b64 v[20:21], v[12:13], off offset:128
	v_add_co_u32 v12, s0, s2, v70
	s_delay_alu instid0(VALU_DEP_1)
	v_add_co_ci_u32_e64 v13, null, s3, 0, s0
	s_clause 0x2
	global_load_b64 v[18:19], v[14:15], off offset:128
	global_load_b64 v[14:15], v[23:24], off offset:128
	;; [unrolled: 1-line block ×3, first 2 shown]
	v_lshrrev_b32_e32 v31, 23, v22
	v_mul_u32_u24_e32 v22, 0xe38f, v25
	v_mul_u32_u24_e32 v23, 0xe38f, v26
	;; [unrolled: 1-line block ×3, first 2 shown]
	s_delay_alu instid0(VALU_DEP_4) | instskip(NEXT) | instid1(VALU_DEP_4)
	v_mul_lo_u16 v25, 0x90, v31
	v_lshrrev_b32_e32 v33, 23, v22
	s_delay_alu instid0(VALU_DEP_4) | instskip(NEXT) | instid1(VALU_DEP_4)
	v_lshrrev_b32_e32 v34, 23, v23
	v_lshrrev_b32_e32 v32, 23, v24
	s_delay_alu instid0(VALU_DEP_4) | instskip(NEXT) | instid1(VALU_DEP_4)
	v_sub_nc_u16 v35, v58, v25
	v_mul_lo_u16 v22, 0x90, v33
	s_delay_alu instid0(VALU_DEP_4) | instskip(NEXT) | instid1(VALU_DEP_4)
	v_mul_lo_u16 v23, 0x90, v34
	v_mul_lo_u16 v24, 0x90, v32
	v_mad_u16 v25, 0x90, v44, v48
	v_lshlrev_b16 v26, 3, v35
	v_sub_nc_u16 v37, v42, v22
	v_sub_nc_u16 v43, v41, v23
	;; [unrolled: 1-line block ×3, first 2 shown]
	v_and_b32_e32 v22, 0xffff, v25
	v_and_b32_e32 v26, 0xffff, v26
	v_lshlrev_b16 v27, 3, v37
	v_lshlrev_b16 v28, 3, v43
	;; [unrolled: 1-line block ×3, first 2 shown]
	v_mad_u16 v23, 0x90, v45, v49
	v_mad_u16 v24, 0x90, v46, v50
	;; [unrolled: 1-line block ×3, first 2 shown]
	v_lshlrev_b32_e32 v71, 2, v22
	v_add_co_u32 v22, s0, s2, v26
	v_and_b32_e32 v26, 0xffff, v27
	v_and_b32_e32 v27, 0xffff, v28
	;; [unrolled: 1-line block ×3, first 2 shown]
	ds_load_b32 v28, v59 offset:5184
	ds_load_b32 v29, v59 offset:10368
	;; [unrolled: 1-line block ×3, first 2 shown]
	ds_load_b32 v46, v59
	ds_load_b32 v47, v59 offset:1296
	ds_load_b32 v48, v59 offset:2592
	;; [unrolled: 1-line block ×8, first 2 shown]
	v_and_b32_e32 v24, 0xffff, v24
	v_and_b32_e32 v38, 0xffff, v23
	;; [unrolled: 1-line block ×3, first 2 shown]
	v_add_co_ci_u32_e64 v23, null, s3, 0, s0
	s_delay_alu instid0(VALU_DEP_4)
	v_lshlrev_b32_e32 v69, 2, v24
	v_add_co_u32 v24, s0, s2, v26
	v_lshlrev_b32_e32 v70, 2, v38
	v_lshlrev_b32_e32 v68, 2, v25
	v_add_co_ci_u32_e64 v25, null, s3, 0, s0
	v_add_co_u32 v38, s0, s2, v27
	s_waitcnt lgkmcnt(11)
	v_lshrrev_b32_e32 v27, 16, v28
	s_waitcnt lgkmcnt(10)
	v_lshrrev_b32_e32 v55, 16, v29
	s_waitcnt lgkmcnt(5)
	v_lshrrev_b32_e32 v57, 16, v49
	v_lshrrev_b32_e32 v89, 16, v45
	s_waitcnt lgkmcnt(4)
	v_lshrrev_b32_e32 v91, 16, v50
	s_waitcnt lgkmcnt(1)
	v_lshrrev_b32_e32 v92, 16, v53
	v_lshrrev_b32_e32 v94, 16, v51
	s_waitcnt lgkmcnt(0)
	v_lshrrev_b32_e32 v95, 16, v54
	v_lshrrev_b32_e32 v26, 16, v46
	;; [unrolled: 1-line block ×5, first 2 shown]
	v_add_co_ci_u32_e64 v39, null, s3, 0, s0
	s_waitcnt vmcnt(0)
	s_barrier
	buffer_gl0_inv
	v_mad_u16 v33, 0x1b0, v33, v37
	v_mad_u16 v34, 0x1b0, v34, v43
	;; [unrolled: 1-line block ×4, first 2 shown]
	s_delay_alu instid0(VALU_DEP_2) | instskip(NEXT) | instid1(VALU_DEP_2)
	v_and_b32_e32 v32, 0xffff, v32
	v_and_b32_e32 v31, 0xffff, v31
	v_lshrrev_b32_e32 v88, 16, v20
	v_lshrrev_b32_e32 v87, 16, v21
	;; [unrolled: 1-line block ×8, first 2 shown]
	v_mul_f16_e32 v96, v27, v88
	v_mul_f16_e32 v97, v28, v88
	;; [unrolled: 1-line block ×16, first 2 shown]
	v_fma_f16 v28, v28, v20, -v96
	v_fmac_f16_e32 v97, v27, v20
	v_fma_f16 v27, v29, v21, -v98
	v_fmac_f16_e32 v99, v55, v21
	;; [unrolled: 2-line block ×8, first 2 shown]
	v_add_f16_e32 v55, v28, v27
	v_add_f16_e32 v91, v97, v99
	v_sub_f16_e32 v57, v97, v99
	v_add_f16_e32 v89, v26, v97
	v_add_f16_e32 v94, v29, v45
	;; [unrolled: 1-line block ×6, first 2 shown]
	v_sub_f16_e32 v28, v28, v27
	v_add_f16_e32 v92, v47, v29
	v_sub_f16_e32 v95, v101, v103
	v_add_f16_e32 v96, v56, v101
	v_sub_f16_e32 v101, v105, v107
	v_add_f16_e32 v102, v90, v105
	v_add_f16_e32 v105, v52, v51
	v_add_f16_e32 v106, v51, v53
	v_sub_f16_e32 v108, v109, v111
	v_add_f16_e32 v110, v93, v109
	v_add_f16_e32 v109, v109, v111
	v_fmac_f16_e32 v46, -0.5, v55
	v_fmac_f16_e32 v26, -0.5, v91
	v_sub_f16_e32 v29, v29, v45
	v_fmac_f16_e32 v47, -0.5, v94
	v_fmac_f16_e32 v56, -0.5, v97
	v_add_f16_e32 v98, v48, v49
	v_sub_f16_e32 v49, v49, v50
	v_fmac_f16_e32 v48, -0.5, v100
	v_fmac_f16_e32 v90, -0.5, v104
	v_sub_f16_e32 v51, v51, v53
	v_add_f16_e32 v27, v54, v27
	v_add_f16_e32 v54, v89, v99
	;; [unrolled: 1-line block ×4, first 2 shown]
	v_fmac_f16_e32 v52, -0.5, v106
	v_add_f16_e32 v91, v110, v111
	v_fmac_f16_e32 v93, -0.5, v109
	v_fmamk_f16 v92, v57, 0x3aee, v46
	v_fmac_f16_e32 v46, 0xbaee, v57
	v_fmamk_f16 v57, v28, 0xbaee, v26
	v_fmac_f16_e32 v26, 0x3aee, v28
	v_add_f16_e32 v55, v96, v103
	v_fmamk_f16 v28, v95, 0x3aee, v47
	v_fmamk_f16 v94, v29, 0xbaee, v56
	v_fmac_f16_e32 v47, 0xbaee, v95
	v_fmac_f16_e32 v56, 0x3aee, v29
	v_add_f16_e32 v50, v98, v50
	v_add_f16_e32 v89, v102, v107
	v_fmamk_f16 v29, v101, 0x3aee, v48
	v_fmamk_f16 v95, v49, 0xbaee, v90
	v_fmac_f16_e32 v48, 0xbaee, v101
	v_fmac_f16_e32 v90, 0x3aee, v49
	v_fmamk_f16 v49, v108, 0x3aee, v52
	v_fmac_f16_e32 v52, 0xbaee, v108
	v_fmamk_f16 v96, v51, 0xbaee, v93
	v_fmac_f16_e32 v93, 0x3aee, v51
	v_pack_b32_f16 v27, v27, v54
	v_pack_b32_f16 v51, v53, v91
	;; [unrolled: 1-line block ×12, first 2 shown]
	ds_store_2addr_b32 v71, v27, v53 offset1:48
	ds_store_b32 v71, v26 offset:384
	ds_store_2addr_b32 v70, v45, v28 offset1:48
	ds_store_b32 v70, v46 offset:384
	;; [unrolled: 2-line block ×4, first 2 shown]
	s_waitcnt lgkmcnt(0)
	s_barrier
	buffer_gl0_inv
	global_load_b64 v[28:29], v[22:23], off offset:512
	v_add_co_u32 v22, s0, s2, v44
	s_delay_alu instid0(VALU_DEP_1)
	v_add_co_ci_u32_e64 v23, null, s3, 0, s0
	s_clause 0x2
	global_load_b64 v[26:27], v[24:25], off offset:512
	global_load_b64 v[24:25], v[38:39], off offset:512
	global_load_b64 v[22:23], v[22:23], off offset:512
	v_add_co_u32 v38, s0, 0xffffff94, v58
	s_delay_alu instid0(VALU_DEP_1)
	v_add_co_ci_u32_e64 v39, null, 0, -1, s0
	v_lshrrev_b16 v44, 4, v41
	v_lshrrev_b16 v45, 4, v40
	v_cmp_gt_u16_e64 s0, 0x6c, v58
	v_lshlrev_b32_e32 v89, 2, v32
	v_lshlrev_b32_e32 v92, 2, v31
	;; [unrolled: 1-line block ×3, first 2 shown]
	s_delay_alu instid0(VALU_DEP_4) | instskip(SKIP_4) | instid1(VALU_DEP_4)
	v_cndmask_b32_e64 v39, v39, v30, s0
	v_and_b32_e32 v30, 0xffff, v44
	v_and_b32_e32 v44, 0xffff, v45
	v_cndmask_b32_e64 v38, v38, v42, s0
	v_lshlrev_b32_e32 v42, 3, v42
	v_mul_u32_u24_e32 v30, 0x12f7, v30
	s_delay_alu instid0(VALU_DEP_4) | instskip(NEXT) | instid1(VALU_DEP_4)
	v_mul_u32_u24_e32 v46, 0x12f7, v44
	v_lshlrev_b64 v[44:45], 3, v[38:39]
	s_delay_alu instid0(VALU_DEP_3) | instskip(NEXT) | instid1(VALU_DEP_3)
	v_lshrrev_b32_e32 v39, 17, v30
	v_lshrrev_b32_e32 v30, 17, v46
	s_delay_alu instid0(VALU_DEP_3) | instskip(NEXT) | instid1(VALU_DEP_3)
	v_add_co_u32 v46, s0, s2, v44
	v_mul_lo_u16 v35, 0x1b0, v39
	s_delay_alu instid0(VALU_DEP_3) | instskip(SKIP_1) | instid1(VALU_DEP_3)
	v_mul_lo_u16 v30, 0x1b0, v30
	v_add_co_ci_u32_e64 v47, s0, s3, v45, s0
	v_sub_nc_u16 v44, v41, v35
	s_delay_alu instid0(VALU_DEP_3) | instskip(SKIP_2) | instid1(VALU_DEP_4)
	v_sub_nc_u16 v43, v40, v30
	v_and_b32_e32 v30, 0xffff, v33
	v_and_b32_e32 v33, 0xffff, v34
	v_lshlrev_b16 v31, 3, v44
	s_delay_alu instid0(VALU_DEP_4) | instskip(NEXT) | instid1(VALU_DEP_4)
	v_lshlrev_b16 v34, 3, v43
	v_lshlrev_b32_e32 v91, 2, v30
	s_delay_alu instid0(VALU_DEP_4)
	v_lshlrev_b32_e32 v90, 2, v33
	ds_load_b32 v32, v59
	ds_load_b32 v33, v59 offset:5184
	ds_load_b32 v35, v59 offset:10368
	;; [unrolled: 1-line block ×11, first 2 shown]
	v_and_b32_e32 v30, 0xffff, v31
	v_and_b32_e32 v34, 0xffff, v34
	s_waitcnt vmcnt(0) lgkmcnt(0)
	s_barrier
	buffer_gl0_inv
	v_add_co_u32 v30, s0, s2, v30
	s_delay_alu instid0(VALU_DEP_1)
	v_add_co_ci_u32_e64 v31, null, s3, 0, s0
	v_lshrrev_b32_e32 v56, 16, v33
	v_lshrrev_b32_e32 v57, 16, v35
	;; [unrolled: 1-line block ×12, first 2 shown]
	v_mad_u16 v44, 0x510, v39, v44
	v_lshrrev_b32_e32 v100, 16, v28
	v_lshrrev_b32_e32 v99, 16, v29
	;; [unrolled: 1-line block ×8, first 2 shown]
	v_mul_f16_e32 v110, v56, v100
	v_mul_f16_e32 v111, v33, v100
	;; [unrolled: 1-line block ×16, first 2 shown]
	v_fma_f16 v33, v33, v28, -v110
	v_fmac_f16_e32 v111, v56, v28
	v_fma_f16 v35, v35, v29, -v112
	v_fmac_f16_e32 v113, v57, v29
	;; [unrolled: 2-line block ×8, first 2 shown]
	v_add_f16_e32 v57, v33, v35
	v_add_f16_e32 v104, v111, v113
	;; [unrolled: 1-line block ×3, first 2 shown]
	v_sub_f16_e32 v103, v111, v113
	v_add_f16_e32 v106, v37, v45
	v_add_f16_e32 v111, v115, v117
	;; [unrolled: 1-line block ×6, first 2 shown]
	v_sub_f16_e32 v124, v123, v125
	v_add_f16_e32 v123, v123, v125
	v_add_f16_e32 v56, v32, v33
	v_sub_f16_e32 v33, v33, v35
	v_add_f16_e32 v105, v36, v37
	v_add_f16_e32 v107, v101, v115
	v_sub_f16_e32 v110, v115, v117
	v_add_f16_e32 v115, v108, v119
	v_sub_f16_e32 v116, v119, v121
	v_add_f16_e32 v119, v54, v51
	v_fmac_f16_e32 v32, -0.5, v57
	v_fmac_f16_e32 v55, -0.5, v104
	v_sub_f16_e32 v37, v37, v45
	v_fmac_f16_e32 v36, -0.5, v106
	v_fmac_f16_e32 v101, -0.5, v111
	v_add_f16_e32 v112, v53, v48
	v_sub_f16_e32 v48, v48, v49
	v_sub_f16_e32 v51, v51, v52
	v_fmac_f16_e32 v53, -0.5, v114
	v_fmac_f16_e32 v108, -0.5, v118
	;; [unrolled: 1-line block ×4, first 2 shown]
	v_add_f16_e32 v35, v56, v35
	v_add_f16_e32 v56, v102, v113
	;; [unrolled: 1-line block ×5, first 2 shown]
	v_fmamk_f16 v105, v103, 0x3aee, v32
	v_fmac_f16_e32 v32, 0xbaee, v103
	v_fmamk_f16 v103, v33, 0xbaee, v55
	v_fmac_f16_e32 v55, 0x3aee, v33
	v_add_f16_e32 v57, v107, v117
	v_fmamk_f16 v33, v110, 0x3aee, v36
	v_fmamk_f16 v106, v37, 0xbaee, v101
	v_fmac_f16_e32 v36, 0xbaee, v110
	v_fmac_f16_e32 v101, 0x3aee, v37
	v_add_f16_e32 v49, v112, v49
	v_add_f16_e32 v102, v115, v121
	v_fmamk_f16 v37, v116, 0x3aee, v53
	v_fmamk_f16 v107, v48, 0xbaee, v108
	v_fmac_f16_e32 v108, 0x3aee, v48
	v_fmamk_f16 v48, v124, 0x3aee, v54
	v_fmamk_f16 v110, v51, 0xbaee, v109
	v_fmac_f16_e32 v53, 0xbaee, v116
	v_fmac_f16_e32 v54, 0xbaee, v124
	;; [unrolled: 1-line block ×3, first 2 shown]
	v_pack_b32_f16 v35, v35, v56
	v_pack_b32_f16 v51, v52, v104
	;; [unrolled: 1-line block ×12, first 2 shown]
	ds_store_2addr_b32 v92, v35, v52 offset1:144
	ds_store_b32 v92, v32 offset:1152
	ds_store_2addr_b32 v91, v45, v33 offset1:144
	ds_store_b32 v91, v36 offset:1152
	;; [unrolled: 2-line block ×4, first 2 shown]
	v_add_co_u32 v48, s0, s2, v34
	s_waitcnt lgkmcnt(0)
	s_barrier
	buffer_gl0_inv
	global_load_b64 v[36:37], v50, s[2:3] offset:1664
	v_add_co_ci_u32_e64 v49, null, s3, 0, s0
	s_clause 0x2
	global_load_b64 v[34:35], v[46:47], off offset:1664
	global_load_b64 v[32:33], v[30:31], off offset:1664
	;; [unrolled: 1-line block ×3, first 2 shown]
	v_cmp_lt_u16_e64 s0, 0x6b, v58
	v_lshlrev_b32_e32 v48, 3, v41
	v_lshlrev_b32_e32 v49, 3, v40
	s_delay_alu instid0(VALU_DEP_3) | instskip(SKIP_1) | instid1(VALU_DEP_1)
	v_cndmask_b32_e64 v45, 0, 0x510, s0
	v_add_co_u32 v46, s0, s2, v50
	v_add_co_ci_u32_e64 v47, null, s3, 0, s0
	s_delay_alu instid0(VALU_DEP_3) | instskip(NEXT) | instid1(VALU_DEP_3)
	v_add_lshl_u32 v101, v38, v45, 2
	v_add_co_u32 v40, s0, 0x1000, v46
	s_delay_alu instid0(VALU_DEP_1) | instskip(SKIP_1) | instid1(VALU_DEP_1)
	v_add_co_ci_u32_e64 v41, s0, 0, v47, s0
	v_add_co_u32 v38, s0, s2, v42
	v_add_co_ci_u32_e64 v42, null, s3, 0, s0
	v_add_co_u32 v45, s0, s2, v48
	s_delay_alu instid0(VALU_DEP_1) | instskip(SKIP_1) | instid1(VALU_DEP_1)
	v_add_co_ci_u32_e64 v47, null, s3, 0, s0
	v_add_co_u32 v48, s0, s2, v49
	v_add_co_ci_u32_e64 v49, null, s3, 0, s0
	v_add_co_u32 v38, s0, 0x1000, v38
	s_delay_alu instid0(VALU_DEP_1)
	v_add_co_ci_u32_e64 v39, s0, 0, v42, s0
	v_and_b32_e32 v42, 0xffff, v43
	v_and_b32_e32 v43, 0xffff, v44
	ds_load_b32 v44, v59 offset:5184
	ds_load_b32 v50, v59 offset:10368
	;; [unrolled: 1-line block ×8, first 2 shown]
	ds_load_b32 v57, v59
	ds_load_b32 v112, v59 offset:1296
	ds_load_b32 v113, v59 offset:3888
	;; [unrolled: 1-line block ×3, first 2 shown]
	v_add_co_u32 v46, s0, 0x1000, v45
	v_lshlrev_b32_e32 v102, 2, v42
	v_lshlrev_b32_e32 v103, 2, v43
	v_add_co_ci_u32_e64 v47, s0, 0, v47, s0
	v_add_co_u32 v48, s0, 0x1000, v48
	s_waitcnt lgkmcnt(11)
	v_lshrrev_b32_e32 v42, 16, v44
	s_waitcnt lgkmcnt(10)
	v_lshrrev_b32_e32 v43, 16, v50
	;; [unrolled: 2-line block ×12, first 2 shown]
	v_add_co_ci_u32_e64 v49, s0, 0, v49, s0
	s_waitcnt vmcnt(0)
	s_barrier
	buffer_gl0_inv
	v_lshrrev_b32_e32 v111, 16, v36
	v_lshrrev_b32_e32 v110, 16, v37
	v_lshrrev_b32_e32 v109, 16, v34
	v_lshrrev_b32_e32 v108, 16, v35
	v_lshrrev_b32_e32 v107, 16, v32
	v_lshrrev_b32_e32 v106, 16, v33
	v_lshrrev_b32_e32 v105, 16, v30
	v_lshrrev_b32_e32 v104, 16, v31
	v_mul_f16_e32 v124, v42, v111
	v_mul_f16_e32 v125, v44, v111
	;; [unrolled: 1-line block ×4, first 2 shown]
	v_mul_f16_e64 v128, v45, v109
	v_mul_f16_e64 v129, v52, v109
	v_mul_f16_e64 v130, v115, v108
	v_mul_f16_e64 v131, v51, v108
	v_mul_f16_e64 v132, v116, v107
	v_mul_f16_e64 v133, v53, v107
	v_mul_f16_e64 v134, v117, v106
	v_mul_f16_e64 v135, v55, v106
	v_mul_f16_e64 v136, v118, v105
	v_mul_f16_e64 v137, v54, v105
	v_mul_f16_e64 v138, v119, v104
	v_mul_f16_e64 v139, v56, v104
	v_fma_f16 v44, v44, v36, -v124
	v_fmac_f16_e32 v125, v42, v36
	v_fma_f16 v42, v50, v37, -v126
	v_fmac_f16_e32 v127, v43, v37
	v_fma_f16 v43, v52, v34, -v128
	v_fmac_f16_e64 v129, v45, v34
	v_fma_f16 v45, v51, v35, -v130
	v_fmac_f16_e64 v131, v115, v35
	;; [unrolled: 2-line block ×6, first 2 shown]
	v_add_f16_e32 v55, v44, v42
	v_add_f16_e32 v115, v125, v127
	;; [unrolled: 1-line block ×3, first 2 shown]
	v_add_f16_e64 v124, v129, v131
	v_add_f16_e32 v54, v57, v44
	v_add_f16_e32 v56, v120, v125
	v_add_f16_e64 v128, v50, v51
	v_add_f16_e64 v130, v133, v135
	v_add_f16_e64 v134, v52, v53
	v_add_f16_e64 v138, v137, v139
	v_sub_f16_e32 v44, v44, v42
	v_sub_f16_e32 v116, v125, v127
	v_add_f16_e32 v117, v112, v43
	v_add_f16_e64 v119, v121, v129
	v_sub_f16_e64 v125, v129, v131
	v_add_f16_e64 v129, v122, v133
	v_sub_f16_e64 v132, v133, v135
	v_add_f16_e64 v133, v113, v52
	v_add_f16_e64 v136, v123, v137
	v_fmac_f16_e32 v57, -0.5, v55
	v_fmac_f16_e32 v120, -0.5, v115
	v_sub_f16_e32 v43, v43, v45
	v_fmac_f16_e32 v112, -0.5, v118
	v_fmac_f16_e32 v121, -0.5, v124
	v_add_f16_e32 v126, v114, v50
	v_sub_f16_e32 v50, v50, v51
	v_sub_f16_e32 v52, v52, v53
	v_sub_f16_e64 v137, v137, v139
	v_add_f16_e32 v42, v54, v42
	v_add_f16_e32 v54, v56, v127
	v_fmac_f16_e64 v114, -0.5, v128
	v_fmac_f16_e64 v122, -0.5, v130
	;; [unrolled: 1-line block ×4, first 2 shown]
	v_add_f16_e32 v45, v117, v45
	v_add_f16_e64 v53, v133, v53
	v_add_f16_e64 v115, v136, v139
	v_fmamk_f16 v117, v116, 0x3aee, v57
	v_fmac_f16_e32 v57, 0xbaee, v116
	v_fmamk_f16 v116, v44, 0xbaee, v120
	v_fmac_f16_e32 v120, 0x3aee, v44
	v_add_f16_e64 v55, v119, v131
	v_fmamk_f16 v44, v125, 0x3aee, v112
	v_fmamk_f16 v118, v43, 0xbaee, v121
	v_add_f16_e32 v51, v126, v51
	v_add_f16_e64 v56, v129, v135
	v_fmac_f16_e32 v112, 0xbaee, v125
	v_fmac_f16_e32 v121, 0x3aee, v43
	v_fma_f16 v43, 0x3aee, v132, v114
	v_fmac_f16_e64 v114, 0xbaee, v132
	v_fmamk_f16 v119, v50, 0xbaee, v122
	v_fmac_f16_e32 v122, 0x3aee, v50
	v_fma_f16 v50, 0x3aee, v137, v113
	v_fmac_f16_e64 v113, 0xbaee, v137
	v_fmamk_f16 v124, v52, 0xbaee, v123
	v_fmac_f16_e32 v123, 0x3aee, v52
	v_pack_b32_f16 v42, v42, v54
	v_pack_b32_f16 v52, v53, v115
	;; [unrolled: 1-line block ×12, first 2 shown]
	ds_store_b32 v59, v42
	ds_store_b32 v59, v53 offset:1728
	ds_store_b32 v59, v54 offset:3456
	ds_store_b32 v101, v45
	ds_store_b32 v101, v44 offset:1728
	ds_store_b32 v101, v55 offset:3456
	;; [unrolled: 3-line block ×3, first 2 shown]
	ds_store_b32 v102, v52 offset:10368
	ds_store_b32 v102, v50 offset:12096
	;; [unrolled: 1-line block ×3, first 2 shown]
	s_waitcnt lgkmcnt(0)
	s_barrier
	buffer_gl0_inv
	s_clause 0x3
	global_load_b64 v[44:45], v[40:41], off offset:1024
	global_load_b64 v[42:43], v[38:39], off offset:1024
	;; [unrolled: 1-line block ×4, first 2 shown]
	ds_load_b32 v47, v59 offset:5184
	ds_load_b32 v48, v59 offset:10368
	;; [unrolled: 1-line block ×8, first 2 shown]
	ds_load_b32 v46, v59
	ds_load_b32 v49, v59 offset:1296
	ds_load_b32 v50, v59 offset:2592
	;; [unrolled: 1-line block ×3, first 2 shown]
	s_waitcnt lgkmcnt(11)
	v_lshrrev_b32_e32 v123, 16, v47
	s_waitcnt lgkmcnt(10)
	v_lshrrev_b32_e32 v125, 16, v48
	;; [unrolled: 2-line block ×12, first 2 shown]
	s_waitcnt vmcnt(2)
	v_lshrrev_b32_e32 v117, 16, v42
	v_lshrrev_b32_e32 v119, 16, v44
	;; [unrolled: 1-line block ×4, first 2 shown]
	s_waitcnt vmcnt(1)
	v_lshrrev_b32_e32 v115, 16, v40
	v_lshrrev_b32_e32 v114, 16, v41
	s_waitcnt vmcnt(0)
	v_lshrrev_b32_e32 v113, 16, v38
	v_lshrrev_b32_e32 v112, 16, v39
	v_mul_f16_e64 v132, v123, v119
	v_mul_f16_e64 v133, v47, v119
	;; [unrolled: 1-line block ×16, first 2 shown]
	v_fma_f16 v47, v47, v44, -v132
	v_fmac_f16_e64 v133, v123, v44
	v_fma_f16 v48, v48, v45, -v134
	v_fmac_f16_e64 v135, v125, v45
	v_fma_f16 v51, v51, v42, -v136
	v_fmac_f16_e64 v137, v126, v42
	v_fma_f16 v52, v52, v43, -v138
	v_fmac_f16_e64 v139, v127, v43
	v_fma_f16 v54, v54, v40, -v140
	v_fmac_f16_e64 v141, v128, v40
	v_fma_f16 v55, v55, v41, -v142
	v_fma_f16 v56, v56, v38, -v144
	;; [unrolled: 1-line block ×3, first 2 shown]
	v_fmac_f16_e64 v143, v129, v41
	v_fmac_f16_e64 v145, v130, v38
	;; [unrolled: 1-line block ×3, first 2 shown]
	v_add_f16_e32 v127, v47, v48
	v_add_f16_e64 v130, v133, v135
	v_add_f16_e32 v123, v53, v56
	v_add_f16_e32 v125, v56, v57
	;; [unrolled: 1-line block ×3, first 2 shown]
	v_add_f16_e64 v131, v46, v47
	v_add_f16_e64 v128, v121, v133
	;; [unrolled: 1-line block ×6, first 2 shown]
	v_sub_f16_e64 v132, v56, v57
	v_add_f16_e32 v56, v49, v51
	v_add_f16_e64 v134, v120, v137
	v_add_f16_e64 v140, v50, v54
	;; [unrolled: 1-line block ×4, first 2 shown]
	v_sub_f16_e64 v133, v133, v135
	v_sub_f16_e64 v149, v47, v48
	v_fmac_f16_e32 v46, -0.5, v127
	v_fmac_f16_e64 v121, -0.5, v130
	v_sub_f16_e64 v129, v51, v52
	v_sub_f16_e64 v137, v137, v139
	;; [unrolled: 1-line block ×5, first 2 shown]
	v_add_f16_e32 v51, v123, v57
	v_add_f16_e64 v123, v128, v135
	v_fmac_f16_e32 v49, -0.5, v126
	v_fmac_f16_e64 v120, -0.5, v136
	v_fmac_f16_e64 v50, -0.5, v138
	;; [unrolled: 1-line block ×3, first 2 shown]
	v_fmac_f16_e32 v53, -0.5, v125
	v_fmac_f16_e64 v124, -0.5, v148
	v_add_f16_e64 v54, v131, v48
	v_add_f16_e32 v47, v56, v52
	v_add_f16_e64 v126, v134, v139
	v_add_f16_e64 v128, v142, v143
	;; [unrolled: 1-line block ×4, first 2 shown]
	v_fma_f16 v55, 0x3aee, v133, v46
	v_fma_f16 v127, 0xbaee, v149, v121
	v_fmac_f16_e64 v46, 0xbaee, v133
	v_fmac_f16_e64 v121, 0x3aee, v149
	v_fma_f16 v48, 0x3aee, v137, v49
	v_fmac_f16_e64 v49, 0xbaee, v137
	v_fma_f16 v125, 0xbaee, v129, v120
	;; [unrolled: 2-line block ×6, first 2 shown]
	v_fmac_f16_e64 v124, 0x3aee, v132
	v_pack_b32_f16 v132, v54, v123
	v_pack_b32_f16 v133, v47, v126
	v_pack_b32_f16 v134, v56, v128
	v_pack_b32_f16 v135, v51, v130
	v_pack_b32_f16 v136, v55, v127
	v_pack_b32_f16 v137, v48, v125
	v_pack_b32_f16 v138, v57, v129
	v_pack_b32_f16 v139, v52, v131
	v_pack_b32_f16 v140, v46, v121
	v_pack_b32_f16 v141, v49, v120
	v_pack_b32_f16 v142, v50, v122
	v_pack_b32_f16 v143, v53, v124
	ds_store_b32 v59, v132
	ds_store_b32 v59, v133 offset:1296
	ds_store_b32 v59, v134 offset:2592
	;; [unrolled: 1-line block ×11, first 2 shown]
	s_waitcnt lgkmcnt(0)
	s_barrier
	buffer_gl0_inv
	s_and_saveexec_b32 s2, vcc_lo
	s_cbranch_execz .LBB0_9
; %bb.8:
	v_add_co_u32 v136, s0, s14, v0
	s_delay_alu instid0(VALU_DEP_1) | instskip(NEXT) | instid1(VALU_DEP_2)
	v_add_co_ci_u32_e64 v137, null, s15, 0, s0
	v_add_co_u32 v132, s0, 0x3000, v136
	s_delay_alu instid0(VALU_DEP_1) | instskip(SKIP_3) | instid1(VALU_DEP_1)
	v_add_co_ci_u32_e64 v133, s0, 0, v137, s0
	v_add_co_u32 v134, s1, 0x5000, v136
	global_load_b32 v138, v[132:133], off offset:3264
	v_add_co_u32 v132, s0, 0x3cc0, v136
	v_add_co_ci_u32_e64 v133, s0, 0, v137, s0
	s_clause 0x3
	global_load_b32 v139, v[132:133], off offset:972
	global_load_b32 v140, v[132:133], off offset:1944
	;; [unrolled: 1-line block ×4, first 2 shown]
	v_add_co_u32 v132, s0, 0x4000, v136
	s_delay_alu instid0(VALU_DEP_1)
	v_add_co_ci_u32_e64 v133, s0, 0, v137, s0
	v_add_co_ci_u32_e64 v135, s0, 0, v137, s1
	s_clause 0x3
	global_load_b32 v143, v[132:133], off offset:4028
	global_load_b32 v144, v[134:135], off offset:904
	;; [unrolled: 1-line block ×4, first 2 shown]
	v_add_co_u32 v132, s0, 0x6000, v136
	s_delay_alu instid0(VALU_DEP_1)
	v_add_co_ci_u32_e64 v133, s0, 0, v137, s0
	s_clause 0x3
	global_load_b32 v147, v[134:135], off offset:3820
	global_load_b32 v148, v[132:133], off offset:696
	;; [unrolled: 1-line block ×4, first 2 shown]
	v_add_co_u32 v134, s0, 0x7000, v136
	s_delay_alu instid0(VALU_DEP_1)
	v_add_co_ci_u32_e64 v135, s0, 0, v137, s0
	s_clause 0x2
	global_load_b32 v136, v[132:133], off offset:3612
	global_load_b32 v137, v[134:135], off offset:488
	;; [unrolled: 1-line block ×3, first 2 shown]
	ds_load_b32 v132, v59
	s_waitcnt lgkmcnt(0)
	v_lshrrev_b32_e32 v133, 16, v132
	s_waitcnt vmcnt(15)
	v_lshrrev_b32_e32 v135, 16, v138
	s_delay_alu instid0(VALU_DEP_1)
	v_mul_f16_e64 v151, v133, v135
	v_mul_f16_e64 v135, v132, v135
	s_waitcnt vmcnt(13)
	v_lshrrev_b32_e32 v152, 16, v140
	s_waitcnt vmcnt(12)
	v_lshrrev_b32_e32 v153, 16, v141
	v_fma_f16 v132, v132, v138, -v151
	v_fmac_f16_e64 v135, v133, v138
	v_lshrrev_b32_e32 v151, 16, v139
	s_delay_alu instid0(VALU_DEP_2)
	v_pack_b32_f16 v132, v132, v135
	v_add_nc_u32_e32 v135, 0x3c0, v0
	ds_store_b32 v59, v132
	ds_load_2addr_b32 v[132:133], v135 offset0:3 offset1:246
	ds_load_b32 v138, v0 offset:2916
	s_waitcnt lgkmcnt(1)
	v_lshrrev_b32_e32 v154, 16, v132
	v_lshrrev_b32_e32 v156, 16, v133
	s_waitcnt lgkmcnt(0)
	v_lshrrev_b32_e32 v158, 16, v138
	v_mul_f16_e64 v155, v132, v151
	v_mul_f16_e64 v157, v133, v152
	v_mul_f16_e64 v151, v154, v151
	v_mul_f16_e64 v152, v156, v152
	v_mul_f16_e64 v159, v138, v153
	v_mul_f16_e64 v153, v158, v153
	v_fmac_f16_e64 v155, v154, v139
	v_fmac_f16_e64 v157, v156, v140
	v_fma_f16 v132, v132, v139, -v151
	v_fma_f16 v133, v133, v140, -v152
	v_fmac_f16_e64 v159, v158, v141
	v_fma_f16 v138, v138, v141, -v153
	s_waitcnt vmcnt(10)
	v_lshrrev_b32_e32 v139, 16, v143
	v_pack_b32_f16 v132, v132, v155
	v_pack_b32_f16 v133, v133, v157
	s_waitcnt vmcnt(9)
	v_lshrrev_b32_e32 v140, 16, v144
	v_pack_b32_f16 v138, v138, v159
	ds_store_2addr_b32 v135, v132, v133 offset0:3 offset1:246
	ds_store_b32 v0, v138 offset:2916
	ds_load_b32 v132, v59 offset:3888
	v_lshrrev_b32_e32 v133, 16, v142
	s_waitcnt vmcnt(8)
	v_lshrrev_b32_e32 v141, 16, v145
	s_waitcnt lgkmcnt(0)
	v_lshrrev_b32_e32 v135, 16, v132
	v_mul_f16_e64 v138, v132, v133
	s_delay_alu instid0(VALU_DEP_2) | instskip(NEXT) | instid1(VALU_DEP_2)
	v_mul_f16_e64 v133, v135, v133
	v_fmac_f16_e64 v138, v135, v142
	v_add_nc_u32_e32 v135, 0x12e0, v0
	s_delay_alu instid0(VALU_DEP_3) | instskip(NEXT) | instid1(VALU_DEP_1)
	v_fma_f16 v132, v132, v142, -v133
	v_pack_b32_f16 v132, v132, v138
	ds_store_b32 v59, v132 offset:3888
	ds_load_2addr_b32 v[132:133], v135 offset0:7 offset1:250
	ds_load_b32 v138, v0 offset:6804
	s_waitcnt lgkmcnt(1)
	v_lshrrev_b32_e32 v142, 16, v132
	v_lshrrev_b32_e32 v152, 16, v133
	s_waitcnt lgkmcnt(0)
	v_lshrrev_b32_e32 v154, 16, v138
	v_mul_f16_e64 v151, v132, v139
	v_mul_f16_e64 v153, v133, v140
	v_mul_f16_e64 v139, v142, v139
	v_mul_f16_e64 v140, v152, v140
	v_mul_f16_e64 v155, v138, v141
	v_mul_f16_e64 v141, v154, v141
	v_fmac_f16_e64 v151, v142, v143
	v_fmac_f16_e64 v153, v152, v144
	v_fma_f16 v132, v132, v143, -v139
	v_fma_f16 v133, v133, v144, -v140
	v_fmac_f16_e64 v155, v154, v145
	v_fma_f16 v138, v138, v145, -v141
	s_waitcnt vmcnt(6)
	v_lshrrev_b32_e32 v139, 16, v147
	v_pack_b32_f16 v132, v132, v151
	v_pack_b32_f16 v133, v133, v153
	s_waitcnt vmcnt(5)
	v_lshrrev_b32_e32 v140, 16, v148
	v_pack_b32_f16 v138, v138, v155
	ds_store_2addr_b32 v135, v132, v133 offset0:7 offset1:250
	ds_store_b32 v0, v138 offset:6804
	ds_load_b32 v132, v59 offset:7776
	v_lshrrev_b32_e32 v133, 16, v146
	s_waitcnt vmcnt(4)
	v_lshrrev_b32_e32 v141, 16, v149
	s_waitcnt lgkmcnt(0)
	v_lshrrev_b32_e32 v135, 16, v132
	v_mul_f16_e64 v138, v132, v133
	s_delay_alu instid0(VALU_DEP_2) | instskip(NEXT) | instid1(VALU_DEP_2)
	v_mul_f16_e64 v133, v135, v133
	v_fmac_f16_e64 v138, v135, v146
	v_add_nc_u32_e32 v135, 0x2200, v0
	s_delay_alu instid0(VALU_DEP_3) | instskip(NEXT) | instid1(VALU_DEP_1)
	v_fma_f16 v132, v132, v146, -v133
	v_pack_b32_f16 v132, v132, v138
	ds_store_b32 v59, v132 offset:7776
	;; [unrolled: 43-line block ×3, first 2 shown]
	ds_load_2addr_b32 v[132:133], v135 offset0:7 offset1:250
	ds_load_b32 v138, v0 offset:14580
	s_waitcnt lgkmcnt(1)
	v_lshrrev_b32_e32 v142, 16, v132
	v_lshrrev_b32_e32 v144, 16, v133
	s_waitcnt lgkmcnt(0)
	v_lshrrev_b32_e32 v146, 16, v138
	v_mul_f16_e64 v143, v132, v139
	v_mul_f16_e64 v145, v133, v140
	;; [unrolled: 1-line block ×6, first 2 shown]
	v_fmac_f16_e64 v143, v142, v136
	v_fmac_f16_e64 v145, v144, v137
	v_fma_f16 v132, v132, v136, -v139
	v_fma_f16 v133, v133, v137, -v140
	v_fmac_f16_e64 v147, v146, v134
	v_fma_f16 v134, v138, v134, -v141
	s_delay_alu instid0(VALU_DEP_4) | instskip(NEXT) | instid1(VALU_DEP_4)
	v_pack_b32_f16 v132, v132, v143
	v_pack_b32_f16 v133, v133, v145
	s_delay_alu instid0(VALU_DEP_3)
	v_pack_b32_f16 v134, v134, v147
	ds_store_2addr_b32 v135, v132, v133 offset0:7 offset1:250
	ds_store_b32 v0, v134 offset:14580
.LBB0_9:
	s_or_b32 exec_lo, exec_lo, s2
	v_lshrrev_b32_e32 v80, 16, v80
	s_waitcnt lgkmcnt(0)
	s_barrier
	buffer_gl0_inv
	s_and_saveexec_b32 s0, vcc_lo
	s_cbranch_execz .LBB0_11
; %bb.10:
	v_add_nc_u32_e32 v10, 0x780, v59
	v_add_nc_u32_e32 v11, 0xf00, v59
	;; [unrolled: 1-line block ×4, first 2 shown]
	ds_load_2addr_b32 v[54:55], v59 offset1:243
	ds_load_2addr_b32 v[46:47], v10 offset0:6 offset1:249
	v_add_nc_u32_e32 v10, 0x1e40, v59
	ds_load_2addr_b32 v[48:49], v11 offset0:12 offset1:255
	v_add_nc_u32_e32 v11, 0x25e0, v59
	;; [unrolled: 2-line block ×3, first 2 shown]
	ds_load_2addr_b32 v[50:51], v10 offset0:8 offset1:251
	ds_load_2addr_b32 v[52:53], v11 offset0:6 offset1:249
	;; [unrolled: 1-line block ×4, first 2 shown]
	s_waitcnt lgkmcnt(7)
	v_lshrrev_b32_e32 v123, 16, v54
	v_lshrrev_b32_e32 v127, 16, v55
	s_waitcnt lgkmcnt(6)
	v_lshrrev_b32_e32 v121, 16, v46
	v_lshrrev_b32_e32 v126, 16, v47
	;; [unrolled: 3-line block ×8, first 2 shown]
.LBB0_11:
	s_or_b32 exec_lo, exec_lo, s0
	s_barrier
	buffer_gl0_inv
	s_and_saveexec_b32 s0, vcc_lo
	s_cbranch_execz .LBB0_13
; %bb.12:
	v_sub_f16_e64 v67, v128, v67
	v_sub_f16_e32 v52, v46, v52
	v_sub_f16_e64 v131, v121, v131
	v_sub_f16_e32 v80, v125, v80
	v_sub_f16_e32 v50, v54, v50
	;; [unrolled: 1-line block ×3, first 2 shown]
	v_add_f16_e64 v132, v67, v52
	v_sub_f16_e32 v124, v126, v124
	v_sub_f16_e64 v66, v129, v66
	v_sub_f16_e32 v53, v47, v53
	v_sub_f16_e32 v65, v120, v65
	;; [unrolled: 1-line block ×4, first 2 shown]
	v_sub_f16_e64 v130, v127, v130
	v_sub_f16_e32 v11, v49, v11
	v_sub_f16_e32 v122, v123, v122
	;; [unrolled: 1-line block ×3, first 2 shown]
	v_fma_f16 v121, v121, 2.0, -v131
	v_fma_f16 v67, v128, 2.0, -v67
	v_add_f16_e64 v133, v80, v50
	v_add_f16_e64 v134, v66, v53
	;; [unrolled: 1-line block ×3, first 2 shown]
	v_sub_f16_e64 v136, v131, v16
	v_sub_f16_e64 v138, v124, v17
	;; [unrolled: 1-line block ×4, first 2 shown]
	v_fma_f16 v10, v48, 2.0, -v10
	v_sub_f16_e32 v48, v121, v67
	v_fma_f16 v67, v127, 2.0, -v130
	v_fma_f16 v11, v49, 2.0, -v11
	;; [unrolled: 1-line block ×9, first 2 shown]
	v_fma_f16 v137, 0x39a8, v132, v133
	v_fma_f16 v140, 0x39a8, v134, v135
	;; [unrolled: 1-line block ×4, first 2 shown]
	v_fma_f16 v54, v54, 2.0, -v50
	v_fma_f16 v126, v126, 2.0, -v124
	;; [unrolled: 1-line block ×4, first 2 shown]
	v_sub_f16_e32 v49, v67, v49
	v_sub_f16_e32 v17, v47, v17
	;; [unrolled: 1-line block ×3, first 2 shown]
	v_fma_f16 v53, v53, 2.0, -v134
	v_fma_f16 v51, v51, 2.0, -v135
	v_sub_f16_e32 v16, v46, v16
	v_fmac_f16_e64 v137, 0x39a8, v136
	v_fmac_f16_e64 v140, 0x39a8, v138
	;; [unrolled: 1-line block ×4, first 2 shown]
	v_sub_f16_e32 v10, v54, v10
	v_sub_f16_e32 v57, v126, v66
	;; [unrolled: 1-line block ×4, first 2 shown]
	v_fma_f16 v56, v131, 2.0, -v136
	v_fma_f16 v52, v52, 2.0, -v132
	;; [unrolled: 1-line block ×4, first 2 shown]
	v_fma_f16 v132, 0xb9a8, v53, v51
	v_sub_f16_e64 v136, v80, v16
	v_fma_f16 v143, 0x3b64, v140, v137
	v_add_f16_e32 v66, v48, v10
	v_add_f16_e32 v120, v57, v11
	v_fma_f16 v50, v50, 2.0, -v133
	v_fma_f16 v122, v122, 2.0, -v142
	v_fma_f16 v131, 0xb9a8, v124, v129
	v_fmac_f16_e64 v132, 0x39a8, v124
	v_fma_f16 v124, 0x39a8, v127, v136
	v_fma_f16 v48, v121, 2.0, -v48
	v_fma_f16 v121, v135, 2.0, -v140
	;; [unrolled: 1-line block ×4, first 2 shown]
	v_fmac_f16_e64 v143, 0x361f, v141
	v_fma_f16 v128, 0x39a8, v120, v66
	v_fma_f16 v130, 0xb9a8, v52, v50
	;; [unrolled: 1-line block ×3, first 2 shown]
	v_fmac_f16_e64 v131, 0xb9a8, v53
	v_fma_f16 v53, v54, 2.0, -v10
	v_fma_f16 v16, v46, 2.0, -v16
	;; [unrolled: 1-line block ×4, first 2 shown]
	v_fmac_f16_e32 v124, 0xb9a8, v120
	v_fma_f16 v123, v123, 2.0, -v80
	v_fma_f16 v55, v55, 2.0, -v11
	;; [unrolled: 1-line block ×6, first 2 shown]
	v_fma_f16 v120, 0xb61f, v135, v139
	v_fma_f16 v49, v49, 2.0, -v127
	v_fma_f16 v80, v80, 2.0, -v136
	;; [unrolled: 1-line block ×3, first 2 shown]
	v_fmac_f16_e64 v130, 0x39a8, v56
	v_fmac_f16_e64 v134, 0xb9a8, v52
	;; [unrolled: 1-line block ×3, first 2 shown]
	v_sub_f16_e32 v16, v53, v16
	v_sub_f16_e32 v54, v46, v54
	;; [unrolled: 1-line block ×4, first 2 shown]
	v_fma_f16 v137, 0xb61f, v121, v47
	v_fmamk_f16 v127, v11, 0xb9a8, v10
	v_fmac_f16_e32 v120, 0xbb64, v121
	v_fmamk_f16 v121, v49, 0xb9a8, v80
	v_fma_f16 v56, v66, 2.0, -v128
	v_add_f16_e64 v146, v54, v16
	v_sub_f16_e32 v66, v48, v17
	v_fmac_f16_e32 v127, 0x39a8, v49
	v_fma_f16 v49, v50, 2.0, -v130
	v_fma_f16 v50, v51, 2.0, -v132
	v_fmac_f16_e32 v121, 0xb9a8, v11
	v_fma_f16 v11, v129, 2.0, -v131
	v_fma_f16 v122, v122, 2.0, -v134
	;; [unrolled: 1-line block ×3, first 2 shown]
	v_fmac_f16_e64 v137, 0x3b64, v135
	v_fma_f16 v135, v48, 2.0, -v66
	v_fma_f16 v129, 0xbb64, v50, v49
	v_fma_f16 v16, v53, 2.0, -v16
	v_fma_f16 v17, v55, 2.0, -v17
	;; [unrolled: 1-line block ×4, first 2 shown]
	v_fmamk_f16 v55, v11, 0xbb64, v122
	v_fma_f16 v65, 0x3b64, v141, v144
	v_fma_f16 v138, 0x361f, v132, v130
	;; [unrolled: 1-line block ×3, first 2 shown]
	v_fmac_f16_e64 v129, 0x361f, v11
	v_sub_f16_e32 v11, v16, v17
	v_sub_f16_e32 v17, v48, v46
	v_fmac_f16_e32 v55, 0xb61f, v50
	v_fmac_f16_e64 v65, 0xb61f, v140
	v_fmac_f16_e64 v138, 0x3b64, v131
	;; [unrolled: 1-line block ×3, first 2 shown]
	v_fma_f16 v47, v47, 2.0, -v137
	v_fma_f16 v51, v139, 2.0, -v120
	;; [unrolled: 1-line block ×4, first 2 shown]
	v_and_b32_e32 v46, 0xffff, v60
	v_fma_f16 v50, v49, 2.0, -v129
	v_fma_f16 v16, v16, 2.0, -v11
	;; [unrolled: 1-line block ×8, first 2 shown]
	v_lshlrev_b32_e32 v80, 2, v46
	v_pack_b32_f16 v49, v47, v51
	v_pack_b32_f16 v48, v10, v53
	;; [unrolled: 1-line block ×16, first 2 shown]
	ds_store_b128 v80, v[46:49]
	ds_store_b128 v80, v[50:53] offset:16
	ds_store_b128 v80, v[54:57] offset:32
	;; [unrolled: 1-line block ×3, first 2 shown]
.LBB0_13:
	s_or_b32 exec_lo, exec_lo, s0
	s_waitcnt lgkmcnt(0)
	s_barrier
	buffer_gl0_inv
	ds_load_b32 v10, v59
	ds_load_b32 v11, v59 offset:10368
	ds_load_b32 v16, v59 offset:5184
	;; [unrolled: 1-line block ×11, first 2 shown]
	s_waitcnt lgkmcnt(0)
	s_barrier
	buffer_gl0_inv
	v_lshrrev_b32_e32 v54, 16, v10
	v_lshrrev_b32_e32 v56, 16, v11
	;; [unrolled: 1-line block ×7, first 2 shown]
	v_mul_f16_e32 v121, v79, v55
	v_mul_f16_e32 v79, v79, v16
	;; [unrolled: 1-line block ×3, first 2 shown]
	v_lshrrev_b32_e32 v67, 16, v50
	v_lshrrev_b32_e32 v80, 16, v49
	v_fmac_f16_e32 v121, v4, v16
	v_mul_f16_e32 v16, v77, v11
	v_fma_f16 v4, v4, v55, -v79
	v_mul_f16_e32 v55, v78, v60
	v_fmac_f16_e32 v124, v5, v11
	v_mul_f16_e32 v11, v78, v17
	v_fma_f16 v5, v5, v56, -v16
	v_mul_f16_e32 v16, v76, v65
	v_fmac_f16_e32 v55, v8, v17
	v_mul_f16_e32 v17, v76, v48
	v_lshrrev_b32_e32 v122, 16, v51
	v_fma_f16 v8, v8, v60, -v11
	v_mul_f16_e32 v11, v75, v67
	v_fmac_f16_e32 v16, v9, v48
	v_mul_f16_e32 v48, v75, v50
	v_fma_f16 v9, v9, v65, -v17
	v_mul_f16_e32 v17, v74, v80
	v_lshrrev_b32_e32 v123, 16, v53
	v_fmac_f16_e32 v11, v6, v50
	v_mul_f16_e32 v50, v74, v49
	v_fma_f16 v6, v6, v67, -v48
	v_mul_f16_e32 v48, v73, v122
	v_fmac_f16_e32 v17, v7, v49
	v_mul_f16_e32 v49, v73, v51
	v_fma_f16 v7, v7, v80, -v50
	v_mul_f16_e32 v50, v72, v123
	v_fmac_f16_e32 v48, v2, v51
	v_mul_f16_e32 v51, v72, v53
	v_fma_f16 v2, v2, v122, -v49
	v_add_f16_e32 v49, v121, v124
	v_fmac_f16_e32 v50, v3, v53
	v_add_f16_e32 v53, v10, v121
	v_fma_f16 v3, v3, v123, -v51
	v_add_f16_e32 v51, v4, v5
	v_fmac_f16_e32 v10, -0.5, v49
	v_sub_f16_e32 v49, v4, v5
	v_add_f16_e32 v4, v54, v4
	v_add_f16_e32 v60, v46, v55
	v_fmac_f16_e32 v54, -0.5, v51
	v_sub_f16_e32 v51, v121, v124
	v_fmamk_f16 v56, v49, 0xbaee, v10
	v_add_f16_e32 v4, v4, v5
	v_add_f16_e32 v5, v55, v16
	v_fmac_f16_e32 v10, 0x3aee, v49
	v_fmamk_f16 v49, v51, 0x3aee, v54
	v_fmac_f16_e32 v54, 0xbaee, v51
	v_add_f16_e32 v51, v8, v9
	v_fmac_f16_e32 v46, -0.5, v5
	v_sub_f16_e32 v5, v8, v9
	v_add_f16_e32 v8, v57, v8
	v_add_f16_e32 v60, v60, v16
	v_fmac_f16_e32 v57, -0.5, v51
	v_sub_f16_e32 v16, v55, v16
	v_fmamk_f16 v51, v5, 0xbaee, v46
	v_fmac_f16_e32 v46, 0x3aee, v5
	v_add_f16_e32 v5, v8, v9
	v_add_f16_e32 v8, v11, v17
	v_fmamk_f16 v9, v16, 0x3aee, v57
	v_fmac_f16_e32 v57, 0xbaee, v16
	v_add_f16_e32 v16, v6, v7
	v_add_f16_e32 v55, v47, v11
	v_fmac_f16_e32 v47, -0.5, v8
	v_sub_f16_e32 v8, v6, v7
	v_add_f16_e32 v6, v66, v6
	v_fmac_f16_e32 v66, -0.5, v16
	v_sub_f16_e32 v11, v11, v17
	v_lshrrev_b32_e32 v120, 16, v52
	v_fmamk_f16 v16, v8, 0xbaee, v47
	v_add_f16_e32 v6, v6, v7
	v_add_f16_e32 v7, v48, v50
	v_fmac_f16_e32 v47, 0x3aee, v8
	v_fmamk_f16 v8, v11, 0x3aee, v66
	v_fmac_f16_e32 v66, 0xbaee, v11
	v_add_f16_e32 v11, v2, v3
	v_add_f16_e32 v53, v53, v124
	;; [unrolled: 1-line block ×4, first 2 shown]
	v_fmac_f16_e32 v52, -0.5, v7
	v_sub_f16_e32 v7, v2, v3
	v_add_f16_e32 v2, v120, v2
	v_fmac_f16_e32 v120, -0.5, v11
	v_sub_f16_e32 v11, v48, v50
	v_pack_b32_f16 v4, v53, v4
	v_fmamk_f16 v48, v7, 0xbaee, v52
	v_fmac_f16_e32 v52, 0x3aee, v7
	v_pack_b32_f16 v7, v56, v49
	v_pack_b32_f16 v10, v10, v54
	;; [unrolled: 1-line block ×4, first 2 shown]
	v_add_f16_e32 v17, v17, v50
	v_add_f16_e32 v2, v2, v3
	v_fmamk_f16 v3, v11, 0x3aee, v120
	v_fmac_f16_e32 v120, 0xbaee, v11
	ds_store_2addr_b32 v64, v4, v7 offset1:16
	ds_store_b32 v64, v10 offset:128
	ds_store_2addr_b32 v62, v5, v9 offset1:16
	v_pack_b32_f16 v4, v46, v57
	v_pack_b32_f16 v5, v55, v6
	;; [unrolled: 1-line block ×7, first 2 shown]
	ds_store_b32 v62, v4 offset:128
	ds_store_2addr_b32 v61, v5, v6 offset1:16
	ds_store_b32 v61, v7 offset:128
	ds_store_2addr_b32 v63, v2, v3 offset1:16
	ds_store_b32 v63, v8 offset:128
	s_waitcnt lgkmcnt(0)
	s_barrier
	buffer_gl0_inv
	ds_load_b32 v2, v59
	ds_load_b32 v3, v59 offset:10368
	ds_load_b32 v4, v59 offset:5184
	ds_load_b32 v5, v59 offset:6480
	ds_load_b32 v6, v59 offset:1296
	ds_load_b32 v7, v59 offset:2592
	ds_load_b32 v8, v59 offset:11664
	ds_load_b32 v9, v59 offset:12960
	ds_load_b32 v10, v59 offset:7776
	ds_load_b32 v11, v59 offset:9072
	ds_load_b32 v16, v59 offset:3888
	ds_load_b32 v17, v59 offset:14256
	s_waitcnt lgkmcnt(0)
	s_barrier
	buffer_gl0_inv
	v_lshrrev_b32_e32 v46, 16, v2
	v_lshrrev_b32_e32 v48, 16, v3
	v_lshrrev_b32_e32 v47, 16, v4
	v_lshrrev_b32_e32 v50, 16, v5
	v_mul_f16_e32 v60, v88, v4
	v_lshrrev_b32_e32 v49, 16, v6
	v_lshrrev_b32_e32 v51, 16, v8
	v_mul_f16_e32 v56, v88, v47
	v_mul_f16_e32 v62, v87, v48
	v_lshrrev_b32_e32 v53, 16, v10
	v_lshrrev_b32_e32 v54, 16, v9
	;; [unrolled: 1-line block ×3, first 2 shown]
	v_fmac_f16_e32 v56, v20, v4
	v_mul_f16_e32 v4, v87, v3
	v_fma_f16 v20, v20, v47, -v60
	v_mul_f16_e32 v47, v86, v50
	v_fmac_f16_e32 v62, v21, v3
	v_mul_f16_e32 v3, v86, v5
	v_fma_f16 v4, v21, v48, -v4
	v_mul_f16_e32 v21, v85, v51
	;; [unrolled: 4-line block ×4, first 2 shown]
	v_lshrrev_b32_e32 v61, 16, v17
	v_fmac_f16_e32 v18, v14, v10
	v_mul_f16_e32 v10, v83, v9
	v_fma_f16 v8, v14, v53, -v8
	v_mul_f16_e32 v14, v82, v57
	v_fmac_f16_e32 v19, v15, v9
	v_mul_f16_e32 v9, v82, v11
	v_fma_f16 v10, v15, v54, -v10
	v_mul_f16_e32 v15, v81, v61
	v_fmac_f16_e32 v14, v12, v11
	v_mul_f16_e32 v11, v81, v17
	v_fma_f16 v9, v12, v57, -v9
	v_add_f16_e32 v12, v56, v62
	v_fmac_f16_e32 v15, v13, v17
	v_add_f16_e32 v17, v2, v56
	v_fma_f16 v11, v13, v61, -v11
	v_add_f16_e32 v13, v20, v4
	v_fmac_f16_e32 v2, -0.5, v12
	v_sub_f16_e32 v12, v20, v4
	v_add_f16_e32 v20, v46, v20
	v_add_f16_e32 v50, v6, v47
	v_fmac_f16_e32 v46, -0.5, v13
	v_sub_f16_e32 v13, v56, v62
	v_fmamk_f16 v48, v12, 0xbaee, v2
	v_fmac_f16_e32 v2, 0x3aee, v12
	v_add_f16_e32 v12, v47, v21
	v_add_f16_e32 v4, v20, v4
	v_fmamk_f16 v20, v13, 0x3aee, v46
	v_fmac_f16_e32 v46, 0xbaee, v13
	v_add_f16_e32 v13, v3, v5
	v_fmac_f16_e32 v6, -0.5, v12
	v_sub_f16_e32 v12, v3, v5
	v_add_f16_e32 v3, v49, v3
	v_lshrrev_b32_e32 v52, 16, v7
	v_fmac_f16_e32 v49, -0.5, v13
	v_sub_f16_e32 v13, v47, v21
	v_add_f16_e32 v50, v50, v21
	v_add_f16_e32 v3, v3, v5
	;; [unrolled: 1-line block ×3, first 2 shown]
	v_fmamk_f16 v21, v12, 0xbaee, v6
	v_fmac_f16_e32 v6, 0x3aee, v12
	v_fmamk_f16 v12, v13, 0x3aee, v49
	v_fmac_f16_e32 v49, 0xbaee, v13
	v_add_f16_e32 v13, v8, v10
	v_add_f16_e32 v47, v7, v18
	v_fmac_f16_e32 v7, -0.5, v5
	v_sub_f16_e32 v5, v8, v10
	v_add_f16_e32 v8, v52, v8
	v_fmac_f16_e32 v52, -0.5, v13
	v_sub_f16_e32 v13, v18, v19
	v_lshrrev_b32_e32 v55, 16, v16
	v_fmamk_f16 v18, v5, 0xbaee, v7
	v_fmac_f16_e32 v7, 0x3aee, v5
	v_add_f16_e32 v5, v8, v10
	v_add_f16_e32 v8, v14, v15
	v_fmamk_f16 v10, v13, 0x3aee, v52
	v_fmac_f16_e32 v52, 0xbaee, v13
	v_add_f16_e32 v13, v9, v11
	v_add_f16_e32 v17, v17, v62
	;; [unrolled: 1-line block ×4, first 2 shown]
	v_fmac_f16_e32 v16, -0.5, v8
	v_sub_f16_e32 v8, v9, v11
	v_add_f16_e32 v9, v55, v9
	v_fmac_f16_e32 v55, -0.5, v13
	v_sub_f16_e32 v13, v14, v15
	v_add_f16_e32 v14, v19, v15
	v_fmamk_f16 v15, v8, 0xbaee, v16
	v_fmac_f16_e32 v16, 0x3aee, v8
	v_add_f16_e32 v8, v9, v11
	v_pack_b32_f16 v4, v17, v4
	v_pack_b32_f16 v11, v48, v20
	;; [unrolled: 1-line block ×5, first 2 shown]
	v_fmamk_f16 v9, v13, 0x3aee, v55
	v_fmac_f16_e32 v55, 0xbaee, v13
	ds_store_2addr_b32 v71, v4, v11 offset1:48
	ds_store_b32 v71, v2 offset:384
	ds_store_2addr_b32 v70, v3, v12 offset1:48
	v_pack_b32_f16 v2, v6, v49
	v_pack_b32_f16 v3, v47, v5
	;; [unrolled: 1-line block ×7, first 2 shown]
	ds_store_b32 v70, v2 offset:384
	ds_store_2addr_b32 v69, v3, v4 offset1:48
	ds_store_b32 v69, v5 offset:384
	ds_store_2addr_b32 v68, v6, v7 offset1:48
	ds_store_b32 v68, v8 offset:384
	s_waitcnt lgkmcnt(0)
	s_barrier
	buffer_gl0_inv
	ds_load_b32 v2, v59
	ds_load_b32 v3, v59 offset:10368
	ds_load_b32 v4, v59 offset:5184
	;; [unrolled: 1-line block ×11, first 2 shown]
	s_waitcnt lgkmcnt(0)
	s_barrier
	buffer_gl0_inv
	v_lshrrev_b32_e32 v14, 16, v2
	v_lshrrev_b32_e32 v16, 16, v3
	;; [unrolled: 1-line block ×4, first 2 shown]
	v_mul_f16_e32 v50, v100, v4
	v_lshrrev_b32_e32 v17, 16, v6
	v_lshrrev_b32_e32 v19, 16, v8
	v_mul_f16_e32 v48, v100, v15
	v_mul_f16_e32 v52, v99, v16
	v_fma_f16 v15, v28, v15, -v50
	v_lshrrev_b32_e32 v21, 16, v10
	v_lshrrev_b32_e32 v46, 16, v9
	v_fmac_f16_e32 v48, v28, v4
	v_mul_f16_e32 v4, v99, v3
	v_mul_f16_e32 v28, v98, v18
	v_fmac_f16_e32 v52, v29, v3
	v_mul_f16_e32 v3, v98, v5
	v_lshrrev_b32_e32 v49, 16, v11
	v_fma_f16 v4, v29, v16, -v4
	v_mul_f16_e32 v16, v97, v19
	v_fmac_f16_e32 v28, v26, v5
	v_mul_f16_e32 v5, v97, v8
	v_fma_f16 v3, v26, v18, -v3
	v_mul_f16_e32 v18, v96, v21
	v_fmac_f16_e32 v16, v27, v8
	v_mul_f16_e32 v8, v96, v10
	v_fma_f16 v5, v27, v19, -v5
	v_mul_f16_e32 v19, v95, v46
	v_lshrrev_b32_e32 v51, 16, v13
	v_fmac_f16_e32 v18, v24, v10
	v_fma_f16 v8, v24, v21, -v8
	v_mul_f16_e32 v21, v94, v49
	v_mul_f16_e32 v10, v95, v9
	v_fmac_f16_e32 v19, v25, v9
	v_mul_f16_e32 v9, v94, v11
	v_mul_f16_e32 v24, v93, v51
	v_fmac_f16_e32 v21, v22, v11
	v_mul_f16_e32 v11, v93, v13
	v_fma_f16 v10, v25, v46, -v10
	v_fma_f16 v9, v22, v49, -v9
	v_add_f16_e32 v22, v48, v52
	v_fmac_f16_e32 v24, v23, v13
	v_fma_f16 v11, v23, v51, -v11
	v_add_f16_e32 v23, v15, v4
	v_add_f16_e32 v13, v2, v48
	v_fmac_f16_e32 v2, -0.5, v22
	v_sub_f16_e32 v22, v15, v4
	v_add_f16_e32 v15, v14, v15
	v_fmac_f16_e32 v14, -0.5, v23
	v_sub_f16_e32 v23, v48, v52
	v_add_f16_e32 v26, v6, v28
	v_fmamk_f16 v25, v22, 0xbaee, v2
	v_add_f16_e32 v4, v15, v4
	v_add_f16_e32 v15, v28, v16
	v_fmac_f16_e32 v2, 0x3aee, v22
	v_fmamk_f16 v22, v23, 0x3aee, v14
	v_fmac_f16_e32 v14, 0xbaee, v23
	v_add_f16_e32 v23, v3, v5
	v_fmac_f16_e32 v6, -0.5, v15
	v_sub_f16_e32 v15, v3, v5
	v_add_f16_e32 v3, v17, v3
	v_add_f16_e32 v26, v26, v16
	v_fmac_f16_e32 v17, -0.5, v23
	v_sub_f16_e32 v16, v28, v16
	v_lshrrev_b32_e32 v20, 16, v7
	v_add_f16_e32 v3, v3, v5
	v_add_f16_e32 v5, v18, v19
	v_fmamk_f16 v23, v15, 0xbaee, v6
	v_fmac_f16_e32 v6, 0x3aee, v15
	v_fmamk_f16 v15, v16, 0x3aee, v17
	v_fmac_f16_e32 v17, 0xbaee, v16
	v_add_f16_e32 v16, v8, v10
	v_add_f16_e32 v27, v7, v18
	v_fmac_f16_e32 v7, -0.5, v5
	v_sub_f16_e32 v5, v8, v10
	v_add_f16_e32 v8, v20, v8
	v_fmac_f16_e32 v20, -0.5, v16
	v_sub_f16_e32 v16, v18, v19
	v_lshrrev_b32_e32 v47, 16, v12
	v_fmamk_f16 v18, v5, 0xbaee, v7
	v_fmac_f16_e32 v7, 0x3aee, v5
	v_add_f16_e32 v5, v8, v10
	v_add_f16_e32 v8, v21, v24
	v_fmamk_f16 v10, v16, 0x3aee, v20
	v_fmac_f16_e32 v20, 0xbaee, v16
	v_add_f16_e32 v16, v9, v11
	v_add_f16_e32 v13, v13, v52
	;; [unrolled: 1-line block ×4, first 2 shown]
	v_fmac_f16_e32 v12, -0.5, v8
	v_sub_f16_e32 v8, v9, v11
	v_add_f16_e32 v9, v47, v9
	v_fmac_f16_e32 v47, -0.5, v16
	v_sub_f16_e32 v16, v21, v24
	v_pack_b32_f16 v4, v13, v4
	v_fmamk_f16 v21, v8, 0xbaee, v12
	v_fmac_f16_e32 v12, 0x3aee, v8
	v_add_f16_e32 v8, v9, v11
	v_pack_b32_f16 v11, v25, v22
	v_pack_b32_f16 v2, v2, v14
	v_pack_b32_f16 v3, v26, v3
	v_pack_b32_f16 v13, v23, v15
	v_add_f16_e32 v19, v19, v24
	v_fmamk_f16 v9, v16, 0x3aee, v47
	v_fmac_f16_e32 v47, 0xbaee, v16
	ds_store_2addr_b32 v92, v4, v11 offset1:144
	ds_store_b32 v92, v2 offset:1152
	ds_store_2addr_b32 v91, v3, v13 offset1:144
	v_pack_b32_f16 v2, v6, v17
	v_pack_b32_f16 v3, v27, v5
	;; [unrolled: 1-line block ×7, first 2 shown]
	ds_store_b32 v91, v2 offset:1152
	ds_store_2addr_b32 v90, v3, v4 offset1:144
	ds_store_b32 v90, v5 offset:1152
	ds_store_2addr_b32 v89, v6, v7 offset1:144
	ds_store_b32 v89, v8 offset:1152
	s_waitcnt lgkmcnt(0)
	s_barrier
	buffer_gl0_inv
	ds_load_b32 v2, v59
	ds_load_b32 v3, v59 offset:10368
	ds_load_b32 v4, v59 offset:5184
	;; [unrolled: 1-line block ×11, first 2 shown]
	s_waitcnt lgkmcnt(0)
	s_barrier
	buffer_gl0_inv
	v_lshrrev_b32_e32 v14, 16, v2
	v_lshrrev_b32_e32 v16, 16, v3
	;; [unrolled: 1-line block ×4, first 2 shown]
	v_mul_f16_e32 v26, v111, v4
	v_lshrrev_b32_e32 v17, 16, v6
	v_lshrrev_b32_e32 v19, 16, v8
	v_mul_f16_e32 v24, v111, v15
	v_mul_f16_e32 v28, v110, v16
	v_fma_f16 v15, v36, v15, -v26
	v_mul_f16_e32 v26, v109, v18
	v_lshrrev_b32_e32 v21, 16, v10
	v_fmac_f16_e32 v24, v36, v4
	v_mul_f16_e32 v4, v110, v3
	v_lshrrev_b32_e32 v22, 16, v9
	v_fmac_f16_e32 v28, v37, v3
	v_mul_f16_e32 v3, v109, v5
	v_fmac_f16_e32 v26, v34, v5
	v_fma_f16 v4, v37, v16, -v4
	v_mul_f16_e32 v16, v108, v19
	v_mul_f16_e32 v5, v108, v8
	v_lshrrev_b32_e32 v25, 16, v11
	v_fma_f16 v3, v34, v18, -v3
	v_mul_f16_e32 v18, v107, v21
	v_fmac_f16_e32 v16, v35, v8
	v_mul_f16_e32 v8, v107, v10
	v_fma_f16 v5, v35, v19, -v5
	v_mul_f16_e32 v19, v106, v22
	v_lshrrev_b32_e32 v27, 16, v13
	v_fmac_f16_e32 v18, v32, v10
	v_fma_f16 v8, v32, v21, -v8
	v_mul_f16_e32 v21, v105, v25
	v_mul_f16_e32 v10, v106, v9
	v_fmac_f16_e32 v19, v33, v9
	v_mul_f16_e32 v9, v105, v11
	v_lshrrev_b32_e32 v20, 16, v7
	v_fmac_f16_e32 v21, v30, v11
	v_mul_f16_e32 v11, v104, v13
	v_fma_f16 v10, v33, v22, -v10
	v_mul_f16_e32 v22, v104, v27
	v_fma_f16 v9, v30, v25, -v9
	v_add_f16_e32 v25, v24, v28
	v_fma_f16 v11, v31, v27, -v11
	v_add_f16_e32 v27, v15, v4
	v_fmac_f16_e32 v22, v31, v13
	v_add_f16_e32 v13, v2, v24
	v_fmac_f16_e32 v2, -0.5, v25
	v_sub_f16_e32 v25, v15, v4
	v_add_f16_e32 v15, v14, v15
	v_fmac_f16_e32 v14, -0.5, v27
	v_sub_f16_e32 v24, v24, v28
	v_add_f16_e32 v13, v13, v28
	v_fmamk_f16 v27, v25, 0xbaee, v2
	v_add_f16_e32 v4, v15, v4
	v_add_f16_e32 v15, v26, v16
	v_fmac_f16_e32 v2, 0x3aee, v25
	v_fmamk_f16 v25, v24, 0x3aee, v14
	v_add_f16_e32 v28, v6, v26
	v_fmac_f16_e32 v14, 0xbaee, v24
	v_add_f16_e32 v24, v3, v5
	v_fmac_f16_e32 v6, -0.5, v15
	v_sub_f16_e32 v15, v3, v5
	v_add_f16_e32 v3, v17, v3
	v_add_f16_e32 v28, v28, v16
	v_fmac_f16_e32 v17, -0.5, v24
	v_sub_f16_e32 v16, v26, v16
	v_fmamk_f16 v24, v15, 0xbaee, v6
	v_add_f16_e32 v3, v3, v5
	v_add_f16_e32 v5, v18, v19
	v_fmac_f16_e32 v6, 0x3aee, v15
	v_fmamk_f16 v15, v16, 0x3aee, v17
	v_fmac_f16_e32 v17, 0xbaee, v16
	v_add_f16_e32 v16, v8, v10
	v_add_f16_e32 v26, v7, v18
	v_fmac_f16_e32 v7, -0.5, v5
	v_sub_f16_e32 v5, v8, v10
	v_add_f16_e32 v8, v20, v8
	v_fmac_f16_e32 v20, -0.5, v16
	v_sub_f16_e32 v16, v18, v19
	v_lshrrev_b32_e32 v23, 16, v12
	v_fmamk_f16 v18, v5, 0xbaee, v7
	v_fmac_f16_e32 v7, 0x3aee, v5
	v_add_f16_e32 v5, v8, v10
	v_add_f16_e32 v8, v21, v22
	v_fmamk_f16 v10, v16, 0x3aee, v20
	v_fmac_f16_e32 v20, 0xbaee, v16
	v_add_f16_e32 v16, v9, v11
	v_add_f16_e32 v26, v26, v19
	;; [unrolled: 1-line block ×3, first 2 shown]
	v_fmac_f16_e32 v12, -0.5, v8
	v_sub_f16_e32 v8, v9, v11
	v_add_f16_e32 v9, v23, v9
	v_fmac_f16_e32 v23, -0.5, v16
	v_sub_f16_e32 v16, v21, v22
	v_pack_b32_f16 v4, v13, v4
	v_fmamk_f16 v21, v8, 0xbaee, v12
	v_fmac_f16_e32 v12, 0x3aee, v8
	v_add_f16_e32 v8, v9, v11
	v_pack_b32_f16 v11, v27, v25
	v_pack_b32_f16 v2, v2, v14
	v_add_f16_e32 v19, v19, v22
	v_pack_b32_f16 v3, v28, v3
	v_fmamk_f16 v9, v16, 0x3aee, v23
	v_fmac_f16_e32 v23, 0xbaee, v16
	v_pack_b32_f16 v13, v24, v15
	v_pack_b32_f16 v6, v6, v17
	ds_store_b32 v59, v4
	ds_store_b32 v59, v11 offset:1728
	ds_store_b32 v59, v2 offset:3456
	ds_store_b32 v101, v3
	ds_store_b32 v101, v13 offset:1728
	ds_store_b32 v101, v6 offset:3456
	v_pack_b32_f16 v2, v26, v5
	v_pack_b32_f16 v3, v18, v10
	;; [unrolled: 1-line block ×6, first 2 shown]
	ds_store_b32 v103, v2
	ds_store_b32 v103, v3 offset:1728
	ds_store_b32 v103, v4 offset:3456
	;; [unrolled: 1-line block ×5, first 2 shown]
	s_waitcnt lgkmcnt(0)
	s_barrier
	buffer_gl0_inv
	ds_load_b32 v2, v59
	ds_load_b32 v3, v59 offset:10368
	ds_load_b32 v4, v59 offset:5184
	;; [unrolled: 1-line block ×11, first 2 shown]
	s_waitcnt lgkmcnt(11)
	v_lshrrev_b32_e32 v14, 16, v2
	s_waitcnt lgkmcnt(10)
	v_lshrrev_b32_e32 v16, 16, v3
	;; [unrolled: 2-line block ×4, first 2 shown]
	v_mul_f16_e32 v26, v119, v4
	s_waitcnt lgkmcnt(7)
	v_lshrrev_b32_e32 v17, 16, v6
	s_waitcnt lgkmcnt(5)
	v_lshrrev_b32_e32 v19, 16, v8
	v_mul_f16_e32 v24, v119, v15
	v_mul_f16_e32 v28, v118, v16
	v_fma_f16 v15, v44, v15, -v26
	v_mul_f16_e32 v26, v117, v18
	s_waitcnt lgkmcnt(3)
	v_lshrrev_b32_e32 v21, 16, v10
	v_fmac_f16_e32 v24, v44, v4
	v_mul_f16_e32 v4, v118, v3
	v_lshrrev_b32_e32 v22, 16, v9
	v_fmac_f16_e32 v28, v45, v3
	v_mul_f16_e32 v3, v117, v5
	v_fmac_f16_e32 v26, v42, v5
	v_fma_f16 v4, v45, v16, -v4
	v_mul_f16_e32 v16, v116, v19
	v_mul_f16_e32 v5, v116, v8
	s_waitcnt lgkmcnt(2)
	v_lshrrev_b32_e32 v25, 16, v11
	v_fma_f16 v3, v42, v18, -v3
	v_mul_f16_e32 v18, v115, v21
	v_fmac_f16_e32 v16, v43, v8
	v_mul_f16_e32 v8, v115, v10
	v_fma_f16 v5, v43, v19, -v5
	v_mul_f16_e32 v19, v114, v22
	s_waitcnt lgkmcnt(0)
	v_lshrrev_b32_e32 v27, 16, v13
	v_fmac_f16_e32 v18, v40, v10
	v_fma_f16 v8, v40, v21, -v8
	v_mul_f16_e32 v21, v113, v25
	v_mul_f16_e32 v10, v114, v9
	v_fmac_f16_e32 v19, v41, v9
	v_mul_f16_e32 v9, v113, v11
	v_lshrrev_b32_e32 v20, 16, v7
	v_fmac_f16_e32 v21, v38, v11
	v_mul_f16_e32 v11, v112, v13
	v_fma_f16 v10, v41, v22, -v10
	v_mul_f16_e32 v22, v112, v27
	v_fma_f16 v9, v38, v25, -v9
	v_add_f16_e32 v25, v24, v28
	v_fma_f16 v11, v39, v27, -v11
	v_add_f16_e32 v27, v15, v4
	v_fmac_f16_e32 v22, v39, v13
	v_add_f16_e32 v13, v2, v24
	v_fmac_f16_e32 v2, -0.5, v25
	v_sub_f16_e32 v25, v15, v4
	v_add_f16_e32 v15, v14, v15
	v_fmac_f16_e32 v14, -0.5, v27
	v_sub_f16_e32 v24, v24, v28
	v_add_f16_e32 v13, v13, v28
	v_fmamk_f16 v27, v25, 0xbaee, v2
	v_add_f16_e32 v4, v15, v4
	v_add_f16_e32 v15, v26, v16
	v_fmac_f16_e32 v2, 0x3aee, v25
	v_fmamk_f16 v25, v24, 0x3aee, v14
	v_add_f16_e32 v28, v6, v26
	v_fmac_f16_e32 v14, 0xbaee, v24
	v_add_f16_e32 v24, v3, v5
	v_fmac_f16_e32 v6, -0.5, v15
	v_sub_f16_e32 v15, v3, v5
	v_add_f16_e32 v3, v17, v3
	v_add_f16_e32 v28, v28, v16
	v_fmac_f16_e32 v17, -0.5, v24
	v_sub_f16_e32 v16, v26, v16
	v_fmamk_f16 v24, v15, 0xbaee, v6
	v_add_f16_e32 v3, v3, v5
	v_add_f16_e32 v5, v18, v19
	v_fmac_f16_e32 v6, 0x3aee, v15
	v_fmamk_f16 v15, v16, 0x3aee, v17
	v_fmac_f16_e32 v17, 0xbaee, v16
	v_add_f16_e32 v16, v8, v10
	v_add_f16_e32 v26, v7, v18
	v_fmac_f16_e32 v7, -0.5, v5
	v_sub_f16_e32 v5, v8, v10
	v_add_f16_e32 v8, v20, v8
	v_fmac_f16_e32 v20, -0.5, v16
	v_sub_f16_e32 v16, v18, v19
	v_lshrrev_b32_e32 v23, 16, v12
	v_fmamk_f16 v18, v5, 0xbaee, v7
	v_fmac_f16_e32 v7, 0x3aee, v5
	v_add_f16_e32 v5, v8, v10
	v_add_f16_e32 v8, v21, v22
	v_fmamk_f16 v10, v16, 0x3aee, v20
	v_fmac_f16_e32 v20, 0xbaee, v16
	v_add_f16_e32 v16, v9, v11
	v_add_f16_e32 v26, v26, v19
	;; [unrolled: 1-line block ×3, first 2 shown]
	v_fmac_f16_e32 v12, -0.5, v8
	v_sub_f16_e32 v8, v9, v11
	v_add_f16_e32 v9, v23, v9
	v_fmac_f16_e32 v23, -0.5, v16
	v_sub_f16_e32 v16, v21, v22
	v_add_f16_e32 v19, v19, v22
	v_fmamk_f16 v21, v8, 0xbaee, v12
	v_fmac_f16_e32 v12, 0x3aee, v8
	v_add_f16_e32 v8, v9, v11
	v_pack_b32_f16 v4, v13, v4
	v_fmamk_f16 v9, v16, 0x3aee, v23
	v_pack_b32_f16 v3, v28, v3
	v_pack_b32_f16 v5, v26, v5
	v_fmac_f16_e32 v23, 0xbaee, v16
	v_pack_b32_f16 v11, v27, v25
	v_pack_b32_f16 v8, v19, v8
	;; [unrolled: 1-line block ×3, first 2 shown]
	ds_store_b32 v59, v4
	ds_store_b32 v59, v3 offset:1296
	ds_store_b32 v59, v5 offset:2592
	v_pack_b32_f16 v3, v18, v10
	v_pack_b32_f16 v5, v21, v9
	;; [unrolled: 1-line block ×5, first 2 shown]
	ds_store_b32 v59, v8 offset:3888
	v_pack_b32_f16 v7, v12, v23
	ds_store_b32 v59, v11 offset:5184
	ds_store_b32 v59, v13 offset:6480
	;; [unrolled: 1-line block ×8, first 2 shown]
	s_waitcnt lgkmcnt(0)
	s_barrier
	buffer_gl0_inv
	s_and_b32 exec_lo, exec_lo, vcc_lo
	s_cbranch_execz .LBB0_15
; %bb.14:
	s_clause 0x4
	global_load_b32 v12, v0, s[14:15]
	global_load_b32 v14, v0, s[14:15] offset:972
	global_load_b32 v18, v0, s[14:15] offset:1944
	;; [unrolled: 1-line block ×4, first 2 shown]
	v_add_co_u32 v10, s0, s14, v0
	s_delay_alu instid0(VALU_DEP_1) | instskip(SKIP_1) | instid1(VALU_DEP_3)
	v_add_co_ci_u32_e64 v11, null, s15, 0, s0
	v_mad_u64_u32 v[6:7], null, s6, v1, 0
	v_add_co_u32 v4, vcc_lo, 0x1000, v10
	s_delay_alu instid0(VALU_DEP_3)
	v_add_co_ci_u32_e32 v5, vcc_lo, 0, v11, vcc_lo
	v_mad_u64_u32 v[8:9], null, s4, v58, 0
	s_clause 0x1
	global_load_b32 v23, v[4:5], off offset:764
	global_load_b32 v16, v[4:5], off offset:1736
	v_add_nc_u32_e32 v3, 0x12e0, v0
	s_mov_b32 s20, 0xa88f4696
	s_mov_b32 s21, 0x3f30db20
	s_mul_i32 s0, s5, 0x3cc
	v_mad_u64_u32 v[32:33], null, s7, v1, v[7:8]
	v_add_nc_u32_e32 v2, 0x3c0, v0
	ds_load_b32 v24, v0 offset:2916
	ds_load_b32 v17, v0 offset:6804
	;; [unrolled: 1-line block ×3, first 2 shown]
	ds_load_b32 v35, v59
	ds_load_b32 v42, v59 offset:3888
	ds_load_b32 v22, v59 offset:7776
	;; [unrolled: 1-line block ×4, first 2 shown]
	ds_load_2addr_b32 v[28:29], v2 offset0:3 offset1:246
	ds_load_2addr_b32 v[30:31], v3 offset0:7 offset1:250
	v_mad_u64_u32 v[33:34], null, s5, v58, v[9:10]
	v_add_co_u32 v2, vcc_lo, 0x2000, v10
	v_add_co_ci_u32_e32 v3, vcc_lo, 0, v11, vcc_lo
	s_mul_hi_u32 s22, s4, 0x3cc
	s_mul_i32 s19, s4, 0x3cc
	s_add_i32 s22, s22, s0
	s_clause 0x4
	global_load_b32 v27, v[4:5], off offset:2708
	global_load_b32 v26, v[4:5], off offset:3680
	;; [unrolled: 1-line block ×5, first 2 shown]
	s_waitcnt lgkmcnt(9)
	v_lshrrev_b32_e32 v7, 16, v24
	s_waitcnt lgkmcnt(6)
	v_lshrrev_b32_e32 v1, 16, v35
	;; [unrolled: 2-line block ×4, first 2 shown]
	v_lshrrev_b32_e32 v38, 16, v29
	s_waitcnt lgkmcnt(0)
	v_lshrrev_b32_e32 v46, 16, v30
	s_waitcnt vmcnt(11)
	v_lshrrev_b32_e32 v36, 16, v12
	s_waitcnt vmcnt(10)
	;; [unrolled: 2-line block ×5, first 2 shown]
	v_lshrrev_b32_e32 v43, 16, v21
	v_mul_f16_e32 v40, v1, v36
	v_mul_f16_e32 v36, v35, v36
	;; [unrolled: 1-line block ×5, first 2 shown]
	v_fmac_f16_e32 v40, v35, v12
	v_mul_f16_e32 v35, v28, v37
	v_fma_f16 v1, v12, v1, -v36
	v_fmac_f16_e32 v44, v28, v14
	v_fmac_f16_e32 v45, v29, v18
	v_cvt_f32_f16_e32 v12, v40
	v_fma_f16 v14, v14, v34, -v35
	v_cvt_f32_f16_e32 v1, v1
	v_cvt_f32_f16_e32 v28, v44
	v_mul_f16_e32 v47, v7, v41
	v_cvt_f64_f32_e32 v[34:35], v12
	v_cvt_f32_f16_e32 v14, v14
	v_cvt_f64_f32_e32 v[36:37], v1
	v_cvt_f64_f32_e32 v[28:29], v28
	v_fma_f16 v18, v18, v38, -v39
	v_mul_f16_e32 v12, v24, v41
	v_cvt_f64_f32_e32 v[38:39], v14
	v_cvt_f32_f16_e32 v14, v45
	v_mul_f16_e32 v1, v9, v43
	v_fmac_f16_e32 v47, v24, v20
	v_cvt_f32_f16_e32 v18, v18
	s_waitcnt vmcnt(6)
	v_lshrrev_b32_e32 v24, 16, v23
	v_cvt_f64_f32_e32 v[40:41], v14
	v_mul_f16_e32 v48, v42, v43
	v_fma_f16 v7, v20, v7, -v12
	v_cvt_f32_f16_e32 v12, v47
	v_fmac_f16_e32 v1, v42, v21
	v_cvt_f64_f32_e32 v[42:43], v18
	v_mul_f16_e32 v14, v46, v24
	v_cvt_f32_f16_e32 v7, v7
	v_cvt_f64_f32_e32 v[44:45], v12
	v_mul_f16_e32 v18, v30, v24
	v_cvt_f32_f16_e32 v1, v1
	v_fma_f16 v9, v21, v9, -v48
	v_fmac_f16_e32 v14, v30, v23
	v_cvt_f64_f32_e32 v[20:21], v7
	v_mov_b32_e32 v7, v32
	v_fma_f16 v12, v23, v46, -v18
	v_cvt_f64_f32_e32 v[23:24], v1
	v_cvt_f32_f16_e32 v1, v9
	v_cvt_f32_f16_e32 v9, v14
	v_lshlrev_b64 v[6:7], 2, v[6:7]
	v_cvt_f32_f16_e32 v12, v12
	s_delay_alu instid0(VALU_DEP_4) | instskip(NEXT) | instid1(VALU_DEP_4)
	v_cvt_f64_f32_e32 v[46:47], v1
	v_cvt_f64_f32_e32 v[48:49], v9
	v_mov_b32_e32 v9, v33
	s_delay_alu instid0(VALU_DEP_4)
	v_cvt_f64_f32_e32 v[50:51], v12
	v_mul_f64 v[34:35], v[34:35], s[20:21]
	v_lshrrev_b32_e32 v1, 16, v31
	v_mul_f64 v[32:33], v[36:37], s[20:21]
	v_mul_f64 v[28:29], v[28:29], s[20:21]
	s_waitcnt vmcnt(5)
	v_lshrrev_b32_e32 v12, 16, v16
	v_add_co_u32 v14, vcc_lo, s12, v6
	v_mul_f64 v[36:37], v[38:39], s[20:21]
	v_add_co_ci_u32_e32 v18, vcc_lo, s13, v7, vcc_lo
	s_delay_alu instid0(VALU_DEP_4) | instskip(SKIP_3) | instid1(VALU_DEP_4)
	v_mul_f16_e32 v30, v1, v12
	v_lshlrev_b64 v[8:9], 2, v[8:9]
	v_mul_f64 v[6:7], v[40:41], s[20:21]
	v_mul_f16_e32 v12, v31, v12
	v_fmac_f16_e32 v30, v31, v16
	v_mul_f64 v[38:39], v[42:43], s[20:21]
	v_add_co_u32 v8, vcc_lo, v14, v8
	v_mul_f64 v[40:41], v[44:45], s[20:21]
	v_add_co_ci_u32_e32 v9, vcc_lo, v18, v9, vcc_lo
	v_cvt_f32_f16_e32 v14, v30
	s_delay_alu instid0(VALU_DEP_4) | instskip(SKIP_1) | instid1(VALU_DEP_4)
	v_add_co_u32 v42, vcc_lo, v8, s19
	v_mul_f64 v[20:21], v[20:21], s[20:21]
	v_add_co_ci_u32_e32 v43, vcc_lo, s22, v9, vcc_lo
	s_delay_alu instid0(VALU_DEP_4) | instskip(SKIP_2) | instid1(VALU_DEP_4)
	v_cvt_f64_f32_e32 v[52:53], v14
	v_mul_f64 v[23:24], v[23:24], s[20:21]
	v_add_co_u32 v44, vcc_lo, v42, s19
	v_add_co_ci_u32_e32 v45, vcc_lo, s22, v43, vcc_lo
	v_mul_f64 v[46:47], v[46:47], s[20:21]
	v_mul_f64 v[48:49], v[48:49], s[20:21]
	;; [unrolled: 1-line block ×3, first 2 shown]
	v_and_or_b32 v14, 0x1ff, v35, v34
	v_lshrrev_b32_e32 v18, 8, v35
	v_and_or_b32 v32, 0x1ff, v33, v32
	v_and_or_b32 v28, 0x1ff, v29, v28
	v_bfe_u32 v30, v35, 20, 11
	v_cmp_ne_u32_e32 vcc_lo, 0, v14
	v_lshrrev_b32_e32 v34, 16, v35
	v_and_or_b32 v36, 0x1ff, v37, v36
	v_lshrrev_b32_e32 v35, 8, v33
	v_bfe_u32 v56, v29, 20, 11
	v_cndmask_b32_e64 v14, 0, 1, vcc_lo
	v_cmp_ne_u32_e32 vcc_lo, 0, v32
	v_and_or_b32 v6, 0x1ff, v7, v6
	v_bfe_u32 v58, v37, 20, 11
	v_bfe_u32 v54, v33, 20, 11
	v_and_or_b32 v14, 0xffe, v18, v14
	v_cndmask_b32_e64 v32, 0, 1, vcc_lo
	v_cmp_ne_u32_e32 vcc_lo, 0, v28
	v_and_or_b32 v38, 0x1ff, v39, v38
	v_lshrrev_b32_e32 v55, 8, v29
	v_and_or_b32 v40, 0x1ff, v41, v40
	v_lshrrev_b32_e32 v57, 8, v37
	v_cndmask_b32_e64 v28, 0, 1, vcc_lo
	v_cmp_ne_u32_e32 vcc_lo, 0, v36
	v_bfe_u32 v60, v7, 20, 11
	v_bfe_u32 v62, v39, 20, 11
	v_and_or_b32 v20, 0x1ff, v21, v20
	v_sub_nc_u32_e32 v71, 0x3f1, v30
	v_add_nc_u32_e32 v30, 0xfffffc10, v30
	v_cndmask_b32_e64 v36, 0, 1, vcc_lo
	v_cmp_ne_u32_e32 vcc_lo, 0, v6
	v_and_or_b32 v23, 0x1ff, v24, v23
	v_sub_nc_u32_e32 v73, 0x3f1, v56
	v_sub_nc_u32_e32 v74, 0x3f1, v58
	v_and_or_b32 v32, 0xffe, v35, v32
	v_cndmask_b32_e64 v6, 0, 1, vcc_lo
	v_cmp_ne_u32_e32 vcc_lo, 0, v38
	v_and_or_b32 v46, 0x1ff, v47, v46
	v_lshrrev_b32_e32 v59, 8, v7
	v_lshrrev_b32_e32 v61, 8, v39
	v_bfe_u32 v64, v41, 20, 11
	v_cndmask_b32_e64 v38, 0, 1, vcc_lo
	v_cmp_ne_u32_e32 vcc_lo, 0, v40
	v_bfe_u32 v66, v21, 20, 11
	v_sub_nc_u32_e32 v72, 0x3f1, v54
	v_add_nc_u32_e32 v54, 0xfffffc10, v54
	v_sub_nc_u32_e32 v75, 0x3f1, v60
	v_cndmask_b32_e64 v40, 0, 1, vcc_lo
	v_cmp_ne_u32_e32 vcc_lo, 0, v20
	v_sub_nc_u32_e32 v76, 0x3f1, v62
	v_and_or_b32 v28, 0xffe, v55, v28
	v_med3_i32 v55, v73, 0, 13
	v_and_or_b32 v36, 0xffe, v57, v36
	v_cndmask_b32_e64 v20, 0, 1, vcc_lo
	v_cmp_ne_u32_e32 vcc_lo, 0, v23
	v_med3_i32 v57, v74, 0, 13
	v_or_b32_e32 v73, 0x1000, v14
	v_lshl_or_b32 v74, v30, 12, v14
	v_lshrrev_b32_e32 v63, 8, v41
	v_cndmask_b32_e64 v23, 0, 1, vcc_lo
	v_cmp_ne_u32_e32 vcc_lo, 0, v46
	v_lshrrev_b32_e32 v65, 8, v21
	v_bfe_u32 v68, v24, 20, 11
	v_bfe_u32 v70, v47, 20, 11
	v_add_nc_u32_e32 v56, 0xfffffc10, v56
	v_cndmask_b32_e64 v46, 0, 1, vcc_lo
	v_cmp_ne_u32_e32 vcc_lo, 0, v14
	v_sub_nc_u32_e32 v77, 0x3f1, v64
	v_sub_nc_u32_e32 v78, 0x3f1, v66
	v_and_or_b32 v6, 0xffe, v59, v6
	v_med3_i32 v59, v75, 0, 13
	v_cndmask_b32_e64 v14, 0, 1, vcc_lo
	v_cmp_ne_u32_e32 vcc_lo, 0, v32
	v_and_or_b32 v38, 0xffe, v61, v38
	v_med3_i32 v61, v76, 0, 13
	v_or_b32_e32 v75, 0x1000, v32
	v_lshl_or_b32 v76, v54, 12, v32
	v_cndmask_b32_e64 v32, 0, 1, vcc_lo
	v_cmp_ne_u32_e32 vcc_lo, 0, v28
	v_lshrrev_b32_e32 v67, 8, v24
	v_lshrrev_b32_e32 v69, 8, v47
	v_add_nc_u32_e32 v58, 0xfffffc10, v58
	v_sub_nc_u32_e32 v79, 0x3f1, v68
	v_sub_nc_u32_e32 v80, 0x3f1, v70
	v_and_or_b32 v40, 0xffe, v63, v40
	v_med3_i32 v63, v77, 0, 13
	v_and_or_b32 v20, 0xffe, v65, v20
	v_med3_i32 v65, v78, 0, 13
	v_or_b32_e32 v77, 0x1000, v28
	v_lshl_or_b32 v78, v56, 12, v28
	v_cndmask_b32_e64 v28, 0, 1, vcc_lo
	v_cmp_ne_u32_e32 vcc_lo, 0, v36
	v_add_nc_u32_e32 v60, 0xfffffc10, v60
	v_and_or_b32 v23, 0xffe, v67, v23
	v_med3_i32 v67, v79, 0, 13
	v_and_or_b32 v46, 0xffe, v69, v46
	v_med3_i32 v69, v80, 0, 13
	v_or_b32_e32 v79, 0x1000, v36
	v_lshl_or_b32 v80, v58, 12, v36
	v_cndmask_b32_e64 v36, 0, 1, vcc_lo
	v_cmp_ne_u32_e32 vcc_lo, 0, v6
	v_add_nc_u32_e32 v62, 0xfffffc10, v62
	v_or_b32_e32 v81, 0x1000, v6
	v_lshl_or_b32 v82, v60, 12, v6
	v_add_nc_u32_e32 v64, 0xfffffc10, v64
	v_cndmask_b32_e64 v6, 0, 1, vcc_lo
	v_cmp_ne_u32_e32 vcc_lo, 0, v38
	v_or_b32_e32 v83, 0x1000, v38
	v_lshl_or_b32 v84, v62, 12, v38
	v_add_nc_u32_e32 v66, 0xfffffc10, v66
	v_or_b32_e32 v85, 0x1000, v40
	v_cndmask_b32_e64 v38, 0, 1, vcc_lo
	v_cmp_ne_u32_e32 vcc_lo, 0, v40
	v_lshl_or_b32 v86, v64, 12, v40
	v_add_nc_u32_e32 v68, 0xfffffc10, v68
	v_med3_i32 v18, v71, 0, 13
	v_or_b32_e32 v87, 0x1000, v20
	v_cndmask_b32_e64 v40, 0, 1, vcc_lo
	v_cmp_ne_u32_e32 vcc_lo, 0, v20
	v_lshl_or_b32 v88, v66, 12, v20
	v_add_nc_u32_e32 v70, 0xfffffc10, v70
	v_med3_i32 v35, v72, 0, 13
	v_and_or_b32 v48, 0x1ff, v49, v48
	v_cndmask_b32_e64 v20, 0, 1, vcc_lo
	v_cmp_ne_u32_e32 vcc_lo, 0, v23
	v_or_b32_e32 v89, 0x1000, v23
	v_lshl_or_b32 v90, v68, 12, v23
	v_lshrrev_b32_e32 v94, v18, v73
	v_or_b32_e32 v91, 0x1000, v46
	v_cndmask_b32_e64 v23, 0, 1, vcc_lo
	v_cmp_ne_u32_e32 vcc_lo, 0, v46
	v_lshl_or_b32 v92, v70, 12, v46
	v_lshrrev_b32_e32 v95, v35, v75
	v_lshlrev_b32_e32 v18, v18, v94
	v_lshrrev_b32_e32 v96, v55, v77
	v_cndmask_b32_e64 v46, 0, 1, vcc_lo
	v_cmp_ne_u32_e32 vcc_lo, 0, v48
	v_lshlrev_b32_e32 v35, v35, v95
	v_lshl_or_b32 v14, v14, 9, 0x7c00
	v_lshrrev_b32_e32 v97, v57, v79
	v_lshlrev_b32_e32 v55, v55, v96
	v_cndmask_b32_e64 v48, 0, 1, vcc_lo
	v_cmp_ne_u32_e32 vcc_lo, v18, v73
	v_lshl_or_b32 v32, v32, 9, 0x7c00
	v_lshrrev_b32_e32 v98, v59, v81
	v_lshlrev_b32_e32 v57, v57, v97
	v_lshl_or_b32 v36, v36, 9, 0x7c00
	v_cndmask_b32_e64 v18, 0, 1, vcc_lo
	v_cmp_ne_u32_e32 vcc_lo, v35, v75
	v_lshrrev_b32_e32 v99, v61, v83
	v_lshlrev_b32_e32 v59, v59, v98
	v_lshl_or_b32 v28, v28, 9, 0x7c00
	v_lshrrev_b32_e32 v100, v63, v85
	v_cndmask_b32_e64 v35, 0, 1, vcc_lo
	v_cmp_ne_u32_e32 vcc_lo, v55, v77
	v_lshlrev_b32_e32 v61, v61, v99
	v_lshl_or_b32 v38, v38, 9, 0x7c00
	v_lshrrev_b32_e32 v101, v65, v87
	v_lshlrev_b32_e32 v63, v63, v100
	v_cndmask_b32_e64 v55, 0, 1, vcc_lo
	v_cmp_ne_u32_e32 vcc_lo, v57, v79
	v_lshl_or_b32 v6, v6, 9, 0x7c00
	v_lshrrev_b32_e32 v102, v67, v89
	v_lshlrev_b32_e32 v65, v65, v101
	v_lshl_or_b32 v20, v20, 9, 0x7c00
	v_cndmask_b32_e64 v57, 0, 1, vcc_lo
	v_cmp_ne_u32_e32 vcc_lo, v59, v81
	v_lshrrev_b32_e32 v103, v69, v91
	v_lshlrev_b32_e32 v67, v67, v102
	v_or_b32_e32 v18, v94, v18
	v_or_b32_e32 v35, v95, v35
	v_cndmask_b32_e64 v59, 0, 1, vcc_lo
	v_cmp_ne_u32_e32 vcc_lo, v61, v83
	v_lshlrev_b32_e32 v69, v69, v103
	v_or_b32_e32 v55, v96, v55
	v_or_b32_e32 v57, v97, v57
	;; [unrolled: 1-line block ×3, first 2 shown]
	v_cndmask_b32_e64 v61, 0, 1, vcc_lo
	v_cmp_ne_u32_e32 vcc_lo, v63, v85
	v_lshrrev_b32_e32 v71, 8, v49
	v_lshl_or_b32 v46, v46, 9, 0x7c00
	v_lshrrev_b32_e32 v29, 16, v29
	v_or_b32_e32 v61, v99, v61
	v_cndmask_b32_e64 v63, 0, 1, vcc_lo
	v_cmp_ne_u32_e32 vcc_lo, v65, v87
	v_and_or_b32 v48, 0xffe, v71, v48
	v_lshl_or_b32 v40, v40, 9, 0x7c00
	v_lshrrev_b32_e32 v7, 16, v7
	v_or_b32_e32 v63, v100, v63
	v_cndmask_b32_e64 v65, 0, 1, vcc_lo
	v_cmp_ne_u32_e32 vcc_lo, v67, v89
	v_lshrrev_b32_e32 v33, 16, v33
	v_lshrrev_b32_e32 v37, 16, v37
	;; [unrolled: 1-line block ×3, first 2 shown]
	v_or_b32_e32 v65, v101, v65
	v_cndmask_b32_e64 v67, 0, 1, vcc_lo
	v_cmp_ne_u32_e32 vcc_lo, v69, v91
	v_bfe_u32 v72, v49, 20, 11
	v_lshl_or_b32 v23, v23, 9, 0x7c00
	v_lshrrev_b32_e32 v41, 16, v41
	v_or_b32_e32 v67, v102, v67
	v_cndmask_b32_e64 v69, 0, 1, vcc_lo
	v_cmp_gt_i32_e32 vcc_lo, 1, v30
	v_sub_nc_u32_e32 v93, 0x3f1, v72
	v_lshrrev_b32_e32 v21, 16, v21
	v_fma_f16 v1, v16, v1, -v12
	v_or_b32_e32 v69, v103, v69
	v_cndmask_b32_e32 v18, v74, v18, vcc_lo
	v_cmp_gt_i32_e32 vcc_lo, 1, v54
	s_delay_alu instid0(VALU_DEP_4) | instskip(NEXT) | instid1(VALU_DEP_3)
	v_cvt_f32_f16_e32 v1, v1
	v_and_b32_e32 v71, 7, v18
	v_cndmask_b32_e32 v35, v76, v35, vcc_lo
	v_cmp_gt_i32_e32 vcc_lo, 1, v56
	v_lshrrev_b32_e32 v18, 2, v18
	s_delay_alu instid0(VALU_DEP_4) | instskip(NEXT) | instid1(VALU_DEP_4)
	v_cmp_eq_u32_e64 s0, 3, v71
	v_and_b32_e32 v73, 7, v35
	v_cndmask_b32_e32 v55, v78, v55, vcc_lo
	v_cmp_gt_i32_e32 vcc_lo, 1, v58
	v_lshrrev_b32_e32 v35, 2, v35
	s_delay_alu instid0(VALU_DEP_4) | instskip(NEXT) | instid1(VALU_DEP_4)
	v_cmp_lt_i32_e64 s1, 5, v73
	v_dual_cndmask_b32 v57, v80, v57 :: v_dual_and_b32 v74, 7, v55
	v_cmp_gt_i32_e32 vcc_lo, 1, v60
	v_cmp_eq_u32_e64 s2, 3, v73
	v_lshrrev_b32_e32 v55, 2, v55
	s_delay_alu instid0(VALU_DEP_4)
	v_cmp_lt_i32_e64 s3, 5, v74
	v_and_b32_e32 v75, 7, v57
	v_cndmask_b32_e32 v59, v82, v59, vcc_lo
	v_cmp_gt_i32_e32 vcc_lo, 1, v62
	v_cmp_eq_u32_e64 s4, 3, v74
	v_lshrrev_b32_e32 v57, 2, v57
	v_cmp_lt_i32_e64 s5, 5, v75
	v_dual_cndmask_b32 v61, v84, v61 :: v_dual_and_b32 v76, 7, v59
	v_cmp_gt_i32_e32 vcc_lo, 1, v64
	v_cmp_eq_u32_e64 s6, 3, v75
	v_lshrrev_b32_e32 v59, 2, v59
	s_delay_alu instid0(VALU_DEP_4)
	v_cmp_lt_i32_e64 s7, 5, v76
	v_and_b32_e32 v77, 7, v61
	v_cndmask_b32_e32 v63, v86, v63, vcc_lo
	v_cmp_gt_i32_e32 vcc_lo, 1, v66
	v_cmp_eq_u32_e64 s8, 3, v76
	v_lshrrev_b32_e32 v61, 2, v61
	;; [unrolled: 12-line block ×3, first 2 shown]
	v_cmp_lt_i32_e64 s13, 5, v79
	v_dual_cndmask_b32 v69, v92, v69 :: v_dual_and_b32 v80, 7, v67
	v_cmp_lt_i32_e32 vcc_lo, 5, v71
	v_cmp_eq_u32_e64 s14, 3, v79
	v_lshrrev_b32_e32 v67, 2, v67
	s_delay_alu instid0(VALU_DEP_4)
	v_cmp_lt_i32_e64 s15, 5, v80
	v_and_b32_e32 v81, 7, v69
	s_or_b32 vcc_lo, s0, vcc_lo
	v_cmp_eq_u32_e64 s16, 3, v80
	v_add_co_ci_u32_e32 v18, vcc_lo, 0, v18, vcc_lo
	s_or_b32 vcc_lo, s2, s1
	v_cmp_lt_i32_e64 s17, 5, v81
	v_add_co_ci_u32_e32 v35, vcc_lo, 0, v35, vcc_lo
	s_or_b32 vcc_lo, s4, s3
	v_cmp_eq_u32_e64 s18, 3, v81
	v_add_co_ci_u32_e32 v55, vcc_lo, 0, v55, vcc_lo
	s_or_b32 vcc_lo, s6, s5
	v_lshrrev_b32_e32 v69, 2, v69
	v_add_co_ci_u32_e32 v57, vcc_lo, 0, v57, vcc_lo
	s_or_b32 vcc_lo, s8, s7
	v_add_co_ci_u32_e32 v59, vcc_lo, 0, v59, vcc_lo
	s_or_b32 vcc_lo, s10, s9
	;; [unrolled: 2-line block ×6, first 2 shown]
	v_add_co_ci_u32_e32 v69, vcc_lo, 0, v69, vcc_lo
	v_cmp_gt_i32_e32 vcc_lo, 31, v30
	v_cndmask_b32_e32 v18, 0x7c00, v18, vcc_lo
	v_cmp_gt_i32_e32 vcc_lo, 31, v54
	v_cndmask_b32_e32 v35, 0x7c00, v35, vcc_lo
	;; [unrolled: 2-line block ×10, first 2 shown]
	v_cmp_eq_u32_e32 vcc_lo, 0x40f, v30
	v_cndmask_b32_e32 v14, v18, v14, vcc_lo
	v_cmp_eq_u32_e32 vcc_lo, 0x40f, v54
	s_delay_alu instid0(VALU_DEP_2)
	v_and_or_b32 v14, 0x8000, v34, v14
	v_cndmask_b32_e32 v18, v35, v32, vcc_lo
	v_cmp_eq_u32_e32 vcc_lo, 0x40f, v56
	s_waitcnt vmcnt(4)
	v_lshrrev_b32_e32 v34, 16, v27
	v_and_b32_e32 v14, 0xffff, v14
	v_and_or_b32 v18, 0x8000, v33, v18
	v_cndmask_b32_e32 v28, v55, v28, vcc_lo
	v_cmp_eq_u32_e32 vcc_lo, 0x40f, v58
	v_lshrrev_b32_e32 v33, 16, v17
	s_delay_alu instid0(VALU_DEP_4) | instskip(NEXT) | instid1(VALU_DEP_4)
	v_lshl_or_b32 v14, v18, 16, v14
	v_and_or_b32 v28, 0x8000, v29, v28
	v_cndmask_b32_e32 v30, v57, v36, vcc_lo
	v_cmp_eq_u32_e32 vcc_lo, 0x40f, v60
	s_delay_alu instid0(VALU_DEP_2) | instskip(SKIP_2) | instid1(VALU_DEP_2)
	v_and_or_b32 v29, 0x8000, v37, v30
	v_cndmask_b32_e32 v6, v59, v6, vcc_lo
	v_cmp_eq_u32_e32 vcc_lo, 0x40f, v62
	v_and_or_b32 v6, 0x8000, v7, v6
	v_cndmask_b32_e32 v32, v61, v38, vcc_lo
	v_cmp_eq_u32_e32 vcc_lo, 0x40f, v64
	s_delay_alu instid0(VALU_DEP_3) | instskip(NEXT) | instid1(VALU_DEP_3)
	v_and_b32_e32 v6, 0xffff, v6
	v_and_or_b32 v7, 0x8000, v39, v32
	v_cndmask_b32_e32 v35, v63, v40, vcc_lo
	v_cmp_eq_u32_e32 vcc_lo, 0x40f, v66
	s_delay_alu instid0(VALU_DEP_3) | instskip(NEXT) | instid1(VALU_DEP_3)
	v_lshl_or_b32 v6, v7, 16, v6
	v_and_or_b32 v30, 0x8000, v41, v35
	v_cndmask_b32_e32 v20, v65, v20, vcc_lo
	v_cmp_eq_u32_e32 vcc_lo, 0x40f, v68
	v_and_b32_e32 v28, 0xffff, v28
	s_delay_alu instid0(VALU_DEP_3) | instskip(SKIP_1) | instid1(VALU_DEP_3)
	v_and_or_b32 v20, 0x8000, v21, v20
	v_cndmask_b32_e32 v23, v67, v23, vcc_lo
	v_lshl_or_b32 v18, v29, 16, v28
	s_clause 0x2
	global_store_b32 v[8:9], v14, off
	global_store_b32 v[42:43], v18, off
	global_store_b32 v[44:45], v6, off
	v_or_b32_e32 v14, 0x1000, v48
	v_med3_i32 v8, v93, 0, 13
	v_lshrrev_b32_e32 v9, 16, v24
	v_cmp_eq_u32_e32 vcc_lo, 0x40f, v70
	v_and_b32_e32 v21, 0xffff, v30
	v_bfe_u32 v29, v51, 20, 11
	v_lshrrev_b32_e32 v24, v8, v14
	v_and_or_b32 v12, 0x8000, v9, v23
	v_cndmask_b32_e32 v18, v69, v46, vcc_lo
	v_add_co_u32 v6, vcc_lo, v44, s19
	s_delay_alu instid0(VALU_DEP_4) | instskip(SKIP_3) | instid1(VALU_DEP_4)
	v_lshlrev_b32_e32 v16, v8, v24
	v_add_co_ci_u32_e32 v7, vcc_lo, s22, v45, vcc_lo
	v_and_or_b32 v23, 0x1ff, v51, v50
	v_lshl_or_b32 v28, v20, 16, v21
	v_cmp_ne_u32_e32 vcc_lo, v16, v14
	v_lshrrev_b32_e32 v20, 16, v47
	v_mul_f64 v[8:9], v[52:53], s[20:21]
	v_and_b32_e32 v12, 0xffff, v12
	v_add_nc_u32_e32 v16, 0xfffffc10, v72
	v_cndmask_b32_e64 v14, 0, 1, vcc_lo
	v_cmp_ne_u32_e32 vcc_lo, 0, v23
	v_and_or_b32 v18, 0x8000, v20, v18
	v_cvt_f64_f32_e32 v[20:21], v1
	v_lshrrev_b32_e32 v23, 8, v51
	v_or_b32_e32 v14, v24, v14
	v_cndmask_b32_e64 v1, 0, 1, vcc_lo
	v_lshl_or_b32 v12, v18, 16, v12
	v_lshl_or_b32 v24, v16, 12, v48
	v_cmp_gt_i32_e32 vcc_lo, 1, v16
	global_store_b32 v[6:7], v28, off
	v_and_or_b32 v1, 0xffe, v23, v1
	v_sub_nc_u32_e32 v23, 0x3f1, v29
	v_cndmask_b32_e32 v14, v24, v14, vcc_lo
	s_delay_alu instid0(VALU_DEP_3) | instskip(NEXT) | instid1(VALU_DEP_3)
	v_or_b32_e32 v18, 0x1000, v1
	v_med3_i32 v30, v23, 0, 13
	v_add_co_u32 v23, vcc_lo, v6, s19
	v_add_co_ci_u32_e32 v24, vcc_lo, s22, v7, vcc_lo
	s_delay_alu instid0(VALU_DEP_3)
	v_lshrrev_b32_e32 v31, v30, v18
	v_mul_f16_e32 v7, v33, v34
	v_and_b32_e32 v32, 7, v14
	global_store_b32 v[23:24], v12, off
	v_add_nc_u32_e32 v12, 0xfffffc10, v29
	v_lshlrev_b32_e32 v6, v30, v31
	v_fmac_f16_e32 v7, v17, v27
	v_cmp_lt_i32_e32 vcc_lo, 5, v32
	v_cmp_eq_u32_e64 s0, 3, v32
	v_lshrrev_b32_e32 v14, 2, v14
	v_cmp_ne_u32_e64 s1, v6, v18
	v_cvt_f32_f16_e32 v29, v7
	v_lshl_or_b32 v28, v12, 12, v1
	v_and_or_b32 v8, 0x1ff, v9, v8
	s_or_b32 vcc_lo, s0, vcc_lo
	v_cndmask_b32_e64 v6, 0, 1, s1
	v_add_co_ci_u32_e32 v14, vcc_lo, 0, v14, vcc_lo
	s_delay_alu instid0(VALU_DEP_3) | instskip(SKIP_1) | instid1(VALU_DEP_4)
	v_cmp_ne_u32_e64 s1, 0, v8
	v_lshrrev_b32_e32 v30, 8, v9
	v_or_b32_e32 v18, v31, v6
	v_mul_f64 v[6:7], v[20:21], s[20:21]
	v_cvt_f64_f32_e32 v[20:21], v29
	v_cndmask_b32_e64 v8, 0, 1, s1
	v_bfe_u32 v29, v9, 20, 11
	v_cmp_gt_i32_e32 vcc_lo, 1, v12
	v_cmp_eq_u32_e64 s1, 0x40f, v16
	v_lshrrev_b32_e32 v9, 16, v9
	v_and_or_b32 v8, 0xffe, v30, v8
	v_cndmask_b32_e32 v18, v28, v18, vcc_lo
	v_sub_nc_u32_e32 v28, 0x3f1, v29
	v_cmp_ne_u32_e32 vcc_lo, 0, v48
	s_delay_alu instid0(VALU_DEP_4) | instskip(NEXT) | instid1(VALU_DEP_4)
	v_or_b32_e32 v32, 0x1000, v8
	v_and_b32_e32 v31, 7, v18
	s_delay_alu instid0(VALU_DEP_4)
	v_med3_i32 v28, v28, 0, 13
	v_cndmask_b32_e64 v30, 0, 1, vcc_lo
	v_cmp_gt_i32_e32 vcc_lo, 31, v16
	v_lshrrev_b32_e32 v16, 2, v18
	v_cmp_eq_u32_e64 s0, 3, v31
	v_lshrrev_b32_e32 v18, 16, v49
	v_lshl_or_b32 v30, v30, 9, 0x7c00
	v_cndmask_b32_e32 v14, 0x7c00, v14, vcc_lo
	v_cmp_lt_i32_e32 vcc_lo, 5, v31
	v_lshrrev_b32_e32 v31, v28, v32
	s_delay_alu instid0(VALU_DEP_3) | instskip(SKIP_1) | instid1(VALU_DEP_2)
	v_cndmask_b32_e64 v14, v14, v30, s1
	s_or_b32 vcc_lo, s0, vcc_lo
	v_lshlrev_b32_e32 v28, v28, v31
	v_add_co_ci_u32_e32 v30, vcc_lo, 0, v16, vcc_lo
	v_mul_f16_e32 v16, v17, v34
	v_and_or_b32 v14, 0x8000, v18, v14
	s_delay_alu instid0(VALU_DEP_4) | instskip(SKIP_1) | instid1(VALU_DEP_4)
	v_cmp_ne_u32_e32 vcc_lo, v28, v32
	v_add_nc_u32_e32 v28, 0xfffffc10, v29
	v_fma_f16 v27, v27, v33, -v16
	v_and_or_b32 v6, 0x1ff, v7, v6
	v_cndmask_b32_e64 v17, 0, 1, vcc_lo
	v_cmp_ne_u32_e32 vcc_lo, 0, v1
	v_bfe_u32 v32, v7, 20, 11
	v_and_b32_e32 v14, 0xffff, v14
	s_delay_alu instid0(VALU_DEP_4)
	v_or_b32_e32 v29, v31, v17
	v_cndmask_b32_e64 v1, 0, 1, vcc_lo
	v_cmp_ne_u32_e32 vcc_lo, 0, v6
	v_lshl_or_b32 v31, v28, 12, v8
	v_mul_f64 v[16:17], v[20:21], s[20:21]
	v_cvt_f32_f16_e32 v20, v27
	v_lshrrev_b32_e32 v27, 8, v7
	v_cndmask_b32_e64 v6, 0, 1, vcc_lo
	v_cmp_gt_i32_e32 vcc_lo, 1, v28
	v_lshl_or_b32 v1, v1, 9, 0x7c00
	v_cvt_f64_f32_e32 v[20:21], v20
	s_delay_alu instid0(VALU_DEP_4) | instskip(SKIP_3) | instid1(VALU_DEP_4)
	v_and_or_b32 v6, 0xffe, v27, v6
	v_cndmask_b32_e32 v29, v31, v29, vcc_lo
	v_cmp_gt_i32_e32 vcc_lo, 31, v12
	v_sub_nc_u32_e32 v27, 0x3f1, v32
	v_or_b32_e32 v33, 0x1000, v6
	s_delay_alu instid0(VALU_DEP_4) | instskip(SKIP_1) | instid1(VALU_DEP_4)
	v_dual_cndmask_b32 v30, 0x7c00, v30 :: v_dual_and_b32 v31, 7, v29
	v_cmp_eq_u32_e32 vcc_lo, 0x40f, v12
	v_med3_i32 v27, v27, 0, 13
	v_lshrrev_b32_e32 v12, 16, v51
	s_delay_alu instid0(VALU_DEP_4) | instskip(SKIP_1) | instid1(VALU_DEP_4)
	v_cmp_eq_u32_e64 s0, 3, v31
	v_cndmask_b32_e32 v1, v30, v1, vcc_lo
	v_lshrrev_b32_e32 v18, v27, v33
	v_cmp_lt_i32_e32 vcc_lo, 5, v31
	v_lshrrev_b32_e32 v30, 16, v22
	s_waitcnt vmcnt(3)
	v_lshrrev_b32_e32 v31, 16, v26
	v_and_or_b32 v1, 0x8000, v12, v1
	v_lshrrev_b32_e32 v12, 2, v29
	v_lshlrev_b32_e32 v27, v27, v18
	s_or_b32 vcc_lo, s0, vcc_lo
	v_add_nc_u32_e32 v29, 0xfffffc10, v32
	v_lshl_or_b32 v1, v1, 16, v14
	v_add_co_ci_u32_e32 v12, vcc_lo, 0, v12, vcc_lo
	v_cmp_ne_u32_e32 vcc_lo, v27, v33
	v_and_or_b32 v16, 0x1ff, v17, v16
	v_cndmask_b32_e64 v27, 0, 1, vcc_lo
	v_cmp_gt_i32_e32 vcc_lo, 31, v28
	v_lshrrev_b32_e32 v32, 8, v17
	v_bfe_u32 v33, v17, 20, 11
	v_lshrrev_b32_e32 v17, 16, v17
	v_or_b32_e32 v18, v18, v27
	v_cndmask_b32_e32 v12, 0x7c00, v12, vcc_lo
	v_cmp_ne_u32_e32 vcc_lo, 0, v8
	v_lshl_or_b32 v27, v29, 12, v6
	v_mul_f64 v[20:21], v[20:21], s[20:21]
	v_cndmask_b32_e64 v8, 0, 1, vcc_lo
	v_cmp_gt_i32_e32 vcc_lo, 1, v29
	s_delay_alu instid0(VALU_DEP_2) | instskip(SKIP_3) | instid1(VALU_DEP_3)
	v_lshl_or_b32 v8, v8, 9, 0x7c00
	v_cndmask_b32_e32 v18, v27, v18, vcc_lo
	v_cmp_ne_u32_e32 vcc_lo, 0, v16
	v_mul_f16_e32 v27, v30, v31
	v_and_b32_e32 v34, 7, v18
	v_cndmask_b32_e64 v16, 0, 1, vcc_lo
	s_delay_alu instid0(VALU_DEP_3) | instskip(SKIP_1) | instid1(VALU_DEP_4)
	v_fmac_f16_e32 v27, v22, v26
	v_cmp_eq_u32_e32 vcc_lo, 0x40f, v28
	v_cmp_eq_u32_e64 s0, 3, v34
	s_delay_alu instid0(VALU_DEP_4)
	v_and_or_b32 v16, 0xffe, v32, v16
	v_sub_nc_u32_e32 v32, 0x3f1, v33
	v_cndmask_b32_e32 v8, v12, v8, vcc_lo
	v_cvt_f32_f16_e32 v12, v27
	v_cmp_lt_i32_e32 vcc_lo, 5, v34
	v_or_b32_e32 v35, 0x1000, v16
	v_med3_i32 v32, v32, 0, 13
	v_and_or_b32 v34, 0x8000, v9, v8
	v_cvt_f64_f32_e32 v[27:28], v12
	v_lshrrev_b32_e32 v12, 2, v18
	s_or_b32 vcc_lo, s0, vcc_lo
	v_lshrrev_b32_e32 v18, v32, v35
	v_and_b32_e32 v14, 0xffff, v34
	s_waitcnt vmcnt(2)
	v_lshrrev_b32_e32 v34, 16, v25
	v_add_co_ci_u32_e32 v12, vcc_lo, 0, v12, vcc_lo
	v_cmp_ne_u32_e32 vcc_lo, 0, v6
	v_lshlrev_b32_e32 v8, v32, v18
	v_cndmask_b32_e64 v6, 0, 1, vcc_lo
	v_cmp_gt_i32_e32 vcc_lo, 31, v29
	s_delay_alu instid0(VALU_DEP_2)
	v_lshl_or_b32 v6, v6, 9, 0x7c00
	v_cndmask_b32_e32 v9, 0x7c00, v12, vcc_lo
	v_cmp_ne_u32_e32 vcc_lo, v8, v35
	v_mul_f16_e32 v12, v22, v31
	v_cndmask_b32_e64 v8, 0, 1, vcc_lo
	v_cmp_eq_u32_e32 vcc_lo, 0x40f, v29
	v_bfe_u32 v29, v21, 20, 11
	s_delay_alu instid0(VALU_DEP_3)
	v_or_b32_e32 v18, v18, v8
	v_cndmask_b32_e32 v22, v9, v6, vcc_lo
	v_fma_f16 v6, v26, v30, -v12
	v_and_or_b32 v9, 0x1ff, v21, v20
	v_lshrrev_b32_e32 v12, 16, v7
	v_add_nc_u32_e32 v20, 0xfffffc10, v33
	v_add_nc_u32_e32 v26, 0x2200, v0
	v_cvt_f32_f16_e32 v6, v6
	v_cmp_ne_u32_e32 vcc_lo, 0, v9
	v_lshrrev_b32_e32 v9, 8, v21
	v_lshl_or_b32 v30, v20, 12, v16
	v_sub_nc_u32_e32 v31, 0x3f1, v29
	v_cvt_f64_f32_e32 v[6:7], v6
	v_cndmask_b32_e64 v8, 0, 1, vcc_lo
	v_cmp_gt_i32_e32 vcc_lo, 1, v20
	v_and_or_b32 v12, 0x8000, v12, v22
	v_add_nc_u32_e32 v0, 0x3140, v0
	s_delay_alu instid0(VALU_DEP_4)
	v_and_or_b32 v32, 0xffe, v9, v8
	ds_load_2addr_b32 v[8:9], v26 offset0:11 offset1:254
	v_cndmask_b32_e32 v18, v30, v18, vcc_lo
	v_mul_f64 v[26:27], v[27:28], s[20:21]
	v_med3_i32 v28, v31, 0, 13
	v_or_b32_e32 v30, 0x1000, v32
	v_lshl_or_b32 v12, v12, 16, v14
	v_and_b32_e32 v31, 7, v18
	v_add_co_u32 v22, vcc_lo, v23, s19
	s_delay_alu instid0(VALU_DEP_4) | instskip(SKIP_1) | instid1(VALU_DEP_4)
	v_lshrrev_b32_e32 v33, v28, v30
	v_add_co_ci_u32_e32 v23, vcc_lo, s22, v24, vcc_lo
	v_cmp_lt_i32_e32 vcc_lo, 5, v31
	v_cmp_eq_u32_e64 s0, 3, v31
	s_delay_alu instid0(VALU_DEP_4) | instskip(SKIP_1) | instid1(VALU_DEP_3)
	v_lshlrev_b32_e32 v14, v28, v33
	v_lshrrev_b32_e32 v18, 2, v18
	s_or_b32 vcc_lo, s0, vcc_lo
	s_delay_alu instid0(VALU_DEP_2)
	v_cmp_ne_u32_e64 s1, v14, v30
	s_waitcnt lgkmcnt(0)
	v_lshrrev_b32_e32 v24, 16, v8
	v_add_co_ci_u32_e32 v18, vcc_lo, 0, v18, vcc_lo
	v_cmp_ne_u32_e32 vcc_lo, 0, v16
	v_cndmask_b32_e64 v14, 0, 1, s1
	s_delay_alu instid0(VALU_DEP_4) | instskip(SKIP_1) | instid1(VALU_DEP_3)
	v_mul_f16_e32 v28, v24, v34
	v_cndmask_b32_e64 v16, 0, 1, vcc_lo
	v_or_b32_e32 v14, v33, v14
	v_add_nc_u32_e32 v35, 0xfffffc10, v29
	s_delay_alu instid0(VALU_DEP_4)
	v_fmac_f16_e32 v28, v8, v25
	v_mul_f64 v[6:7], v[6:7], s[20:21]
	v_lshl_or_b32 v16, v16, 9, 0x7c00
	v_mul_f16_e32 v8, v8, v34
	v_lshl_or_b32 v29, v35, 12, v32
	v_cmp_gt_i32_e32 vcc_lo, 1, v35
	v_cvt_f32_f16_e32 v28, v28
	s_delay_alu instid0(VALU_DEP_4)
	v_fma_f16 v8, v25, v24, -v8
	v_and_or_b32 v26, 0x1ff, v27, v26
	v_cndmask_b32_e32 v14, v29, v14, vcc_lo
	v_cmp_gt_i32_e32 vcc_lo, 31, v20
	v_cvt_f64_f32_e32 v[28:29], v28
	v_cvt_f32_f16_e32 v8, v8
	v_cmp_ne_u32_e64 s0, 0, v26
	v_and_b32_e32 v33, 7, v14
	v_cndmask_b32_e32 v18, 0x7c00, v18, vcc_lo
	v_add_co_u32 v30, vcc_lo, v22, s19
	v_add_co_ci_u32_e32 v31, vcc_lo, s22, v23, vcc_lo
	v_cmp_eq_u32_e32 vcc_lo, 0x40f, v20
	v_lshrrev_b32_e32 v14, 2, v14
	v_lshrrev_b32_e32 v20, 8, v27
	v_bfe_u32 v26, v27, 20, 11
	global_store_b32 v[22:23], v1, off
	global_store_b32 v[30:31], v12, off
	v_cndmask_b32_e32 v16, v18, v16, vcc_lo
	v_cmp_lt_i32_e32 vcc_lo, 5, v33
	v_cndmask_b32_e64 v18, 0, 1, s0
	v_cmp_eq_u32_e64 s0, 3, v33
	v_lshrrev_b32_e32 v27, 16, v27
	v_and_or_b32 v36, 0x8000, v17, v16
	s_delay_alu instid0(VALU_DEP_4) | instskip(NEXT) | instid1(VALU_DEP_4)
	v_and_or_b32 v18, 0xffe, v20, v18
	s_or_b32 vcc_lo, s0, vcc_lo
	v_sub_nc_u32_e32 v20, 0x3f1, v26
	v_add_co_ci_u32_e32 v14, vcc_lo, 0, v14, vcc_lo
	v_cmp_ne_u32_e32 vcc_lo, 0, v32
	v_or_b32_e32 v33, 0x1000, v18
	s_delay_alu instid0(VALU_DEP_4)
	v_med3_i32 v20, v20, 0, 13
	v_and_or_b32 v6, 0x1ff, v7, v6
	v_bfe_u32 v34, v7, 20, 11
	v_cndmask_b32_e64 v32, 0, 1, vcc_lo
	v_cmp_gt_i32_e32 vcc_lo, 31, v35
	v_lshrrev_b32_e32 v37, v20, v33
	v_add_nc_u32_e32 v26, 0xfffffc10, v26
	s_delay_alu instid0(VALU_DEP_4)
	v_lshl_or_b32 v32, v32, 9, 0x7c00
	v_cndmask_b32_e32 v14, 0x7c00, v14, vcc_lo
	v_cmp_eq_u32_e32 vcc_lo, 0x40f, v35
	v_lshlrev_b32_e32 v20, v20, v37
	v_mul_f64 v[16:17], v[28:29], s[20:21]
	v_lshl_or_b32 v25, v26, 12, v18
	v_cmp_eq_u32_e64 s1, 0x40f, v26
	v_cndmask_b32_e32 v14, v14, v32, vcc_lo
	v_cmp_ne_u32_e32 vcc_lo, 0, v6
	v_lshrrev_b32_e32 v32, 16, v21
	v_lshrrev_b32_e32 v21, 8, v7
	;; [unrolled: 1-line block ×3, first 2 shown]
	v_cndmask_b32_e64 v6, 0, 1, vcc_lo
	v_cmp_ne_u32_e32 vcc_lo, v20, v33
	s_delay_alu instid0(VALU_DEP_2) | instskip(SKIP_3) | instid1(VALU_DEP_4)
	v_and_or_b32 v6, 0xffe, v21, v6
	v_cndmask_b32_e64 v20, 0, 1, vcc_lo
	v_sub_nc_u32_e32 v21, 0x3f1, v34
	v_cmp_gt_i32_e32 vcc_lo, 1, v26
	v_or_b32_e32 v28, 0x1000, v6
	s_delay_alu instid0(VALU_DEP_4) | instskip(NEXT) | instid1(VALU_DEP_4)
	v_or_b32_e32 v24, v37, v20
	v_med3_i32 v29, v21, 0, 13
	v_cvt_f64_f32_e32 v[20:21], v8
	v_and_or_b32 v8, 0x8000, v32, v14
	v_and_b32_e32 v14, 0xffff, v36
	v_cndmask_b32_e32 v24, v25, v24, vcc_lo
	v_lshrrev_b32_e32 v25, v29, v28
	v_add_co_u32 v22, vcc_lo, v30, s19
	s_delay_alu instid0(VALU_DEP_4) | instskip(NEXT) | instid1(VALU_DEP_4)
	v_lshl_or_b32 v1, v8, 16, v14
	v_and_b32_e32 v8, 7, v24
	s_delay_alu instid0(VALU_DEP_4)
	v_lshlrev_b32_e32 v12, v29, v25
	v_lshrrev_b32_e32 v14, 16, v9
	s_waitcnt vmcnt(1)
	v_lshrrev_b32_e32 v29, 16, v5
	v_add_co_ci_u32_e32 v23, vcc_lo, s22, v31, vcc_lo
	v_cmp_ne_u32_e64 s0, v12, v28
	v_cmp_lt_i32_e32 vcc_lo, 5, v8
	v_add_nc_u32_e32 v28, 0xfffffc10, v34
	v_mul_f16_e32 v30, v14, v29
	v_and_or_b32 v16, 0x1ff, v17, v16
	v_cndmask_b32_e64 v12, 0, 1, s0
	v_cmp_eq_u32_e64 s0, 3, v8
	v_lshrrev_b32_e32 v8, 2, v24
	v_lshl_or_b32 v24, v28, 12, v6
	v_fmac_f16_e32 v30, v9, v5
	v_or_b32_e32 v12, v25, v12
	s_or_b32 vcc_lo, s0, vcc_lo
	v_bfe_u32 v31, v17, 20, 11
	v_add_co_ci_u32_e32 v8, vcc_lo, 0, v8, vcc_lo
	v_cmp_gt_i32_e32 vcc_lo, 1, v28
	v_cvt_f32_f16_e32 v25, v30
	v_lshrrev_b32_e32 v30, 8, v17
	v_cndmask_b32_e32 v12, v24, v12, vcc_lo
	v_cmp_ne_u32_e32 vcc_lo, 0, v16
	s_delay_alu instid0(VALU_DEP_4) | instskip(SKIP_1) | instid1(VALU_DEP_4)
	v_cvt_f64_f32_e32 v[24:25], v25
	v_mul_f64 v[20:21], v[20:21], s[20:21]
	v_and_b32_e32 v32, 7, v12
	v_cndmask_b32_e64 v16, 0, 1, vcc_lo
	v_cmp_ne_u32_e32 vcc_lo, 0, v18
	v_lshrrev_b32_e32 v12, 2, v12
	s_delay_alu instid0(VALU_DEP_4) | instskip(NEXT) | instid1(VALU_DEP_4)
	v_cmp_eq_u32_e64 s0, 3, v32
	v_and_or_b32 v16, 0xffe, v30, v16
	v_cndmask_b32_e64 v18, 0, 1, vcc_lo
	v_cmp_gt_i32_e32 vcc_lo, 31, v26
	v_sub_nc_u32_e32 v30, 0x3f1, v31
	s_delay_alu instid0(VALU_DEP_4) | instskip(NEXT) | instid1(VALU_DEP_4)
	v_or_b32_e32 v33, 0x1000, v16
	v_lshl_or_b32 v18, v18, 9, 0x7c00
	v_cndmask_b32_e32 v8, 0x7c00, v8, vcc_lo
	v_cmp_lt_i32_e32 vcc_lo, 5, v32
	v_med3_i32 v30, v30, 0, 13
	s_delay_alu instid0(VALU_DEP_3) | instskip(SKIP_1) | instid1(VALU_DEP_2)
	v_cndmask_b32_e64 v8, v8, v18, s1
	s_or_b32 vcc_lo, s0, vcc_lo
	v_lshrrev_b32_e32 v18, v30, v33
	v_add_co_ci_u32_e32 v12, vcc_lo, 0, v12, vcc_lo
	v_cmp_ne_u32_e32 vcc_lo, 0, v6
	v_and_or_b32 v27, 0x8000, v27, v8
	s_delay_alu instid0(VALU_DEP_4) | instskip(SKIP_4) | instid1(VALU_DEP_3)
	v_lshlrev_b32_e32 v26, v30, v18
	v_add_nc_u32_e32 v30, 0xfffffc10, v31
	v_cndmask_b32_e64 v6, 0, 1, vcc_lo
	v_cmp_gt_i32_e32 vcc_lo, 31, v28
	v_and_b32_e32 v27, 0xffff, v27
	v_lshl_or_b32 v6, v6, 9, 0x7c00
	v_cndmask_b32_e32 v12, 0x7c00, v12, vcc_lo
	v_cmp_ne_u32_e32 vcc_lo, v26, v33
	v_and_or_b32 v20, 0x1ff, v21, v20
	v_cndmask_b32_e64 v26, 0, 1, vcc_lo
	v_cmp_eq_u32_e32 vcc_lo, 0x40f, v28
	v_cndmask_b32_e32 v6, v12, v6, vcc_lo
	s_delay_alu instid0(VALU_DEP_3)
	v_or_b32_e32 v12, v18, v26
	v_mul_f16_e32 v18, v9, v29
	v_mul_f64 v[8:9], v[24:25], s[20:21]
	v_lshl_or_b32 v26, v30, 12, v16
	v_cmp_gt_i32_e32 vcc_lo, 1, v30
	v_and_or_b32 v7, 0x8000, v7, v6
	v_fma_f16 v5, v5, v14, -v18
	v_lshrrev_b32_e32 v18, 8, v21
	v_lshrrev_b32_e32 v25, 16, v19
	v_cndmask_b32_e32 v12, v26, v12, vcc_lo
	v_cmp_ne_u32_e32 vcc_lo, 0, v20
	v_cvt_f32_f16_e32 v5, v5
	v_bfe_u32 v20, v21, 20, 11
	s_waitcnt vmcnt(0)
	v_lshrrev_b32_e32 v26, 16, v4
	v_and_b32_e32 v24, 7, v12
	v_cndmask_b32_e64 v14, 0, 1, vcc_lo
	v_cvt_f64_f32_e32 v[5:6], v5
	s_delay_alu instid0(VALU_DEP_4) | instskip(NEXT) | instid1(VALU_DEP_4)
	v_mul_f16_e32 v29, v25, v26
	v_cmp_lt_i32_e32 vcc_lo, 5, v24
	v_cmp_eq_u32_e64 s0, 3, v24
	v_and_or_b32 v14, 0xffe, v18, v14
	v_sub_nc_u32_e32 v18, 0x3f1, v20
	v_lshl_or_b32 v24, v7, 16, v27
	v_lshrrev_b32_e32 v7, 2, v12
	s_or_b32 vcc_lo, s0, vcc_lo
	v_or_b32_e32 v28, 0x1000, v14
	v_med3_i32 v18, v18, 0, 13
	v_fmac_f16_e32 v29, v19, v4
	v_add_co_ci_u32_e32 v7, vcc_lo, 0, v7, vcc_lo
	v_cmp_ne_u32_e32 vcc_lo, 0, v16
	s_delay_alu instid0(VALU_DEP_4) | instskip(NEXT) | instid1(VALU_DEP_4)
	v_lshrrev_b32_e32 v12, v18, v28
	v_cvt_f32_f16_e32 v27, v29
	v_add_nc_u32_e32 v20, 0xfffffc10, v20
	v_mul_f16_e32 v19, v19, v26
	v_cndmask_b32_e64 v16, 0, 1, vcc_lo
	v_cmp_gt_i32_e32 vcc_lo, 31, v30
	v_lshlrev_b32_e32 v18, v18, v12
	v_and_or_b32 v31, 0x1ff, v9, v8
	s_delay_alu instid0(VALU_DEP_4)
	v_lshl_or_b32 v16, v16, 9, 0x7c00
	v_cndmask_b32_e32 v29, 0x7c00, v7, vcc_lo
	v_cvt_f64_f32_e32 v[7:8], v27
	v_cmp_ne_u32_e32 vcc_lo, v18, v28
	v_lshrrev_b32_e32 v27, 8, v9
	v_bfe_u32 v28, v9, 20, 11
	v_lshrrev_b32_e32 v9, 16, v9
	v_cndmask_b32_e64 v18, 0, 1, vcc_lo
	v_cmp_ne_u32_e32 vcc_lo, 0, v31
	s_delay_alu instid0(VALU_DEP_2)
	v_or_b32_e32 v12, v12, v18
	v_cndmask_b32_e64 v26, 0, 1, vcc_lo
	v_fma_f16 v18, v4, v25, -v19
	v_lshl_or_b32 v19, v20, 12, v14
	v_cmp_gt_i32_e32 vcc_lo, 1, v20
	v_mul_f64 v[4:5], v[5:6], s[20:21]
	v_and_or_b32 v25, 0xffe, v27, v26
	v_sub_nc_u32_e32 v6, 0x3f1, v28
	v_cvt_f32_f16_e32 v18, v18
	v_cndmask_b32_e32 v12, v19, v12, vcc_lo
	v_cmp_eq_u32_e32 vcc_lo, 0x40f, v30
	v_or_b32_e32 v26, 0x1000, v25
	v_med3_i32 v6, v6, 0, 13
	v_cvt_f64_f32_e32 v[18:19], v18
	v_and_b32_e32 v30, 7, v12
	v_cndmask_b32_e32 v27, v29, v16, vcc_lo
	v_add_co_u32 v16, vcc_lo, v22, s19
	v_lshrrev_b32_e32 v31, v6, v26
	v_lshrrev_b32_e32 v29, 16, v17
	v_add_co_ci_u32_e32 v17, vcc_lo, s22, v23, vcc_lo
	v_cmp_lt_i32_e32 vcc_lo, 5, v30
	v_cmp_eq_u32_e64 s0, 3, v30
	v_lshlrev_b32_e32 v6, v6, v31
	v_lshrrev_b32_e32 v12, 2, v12
	v_add_nc_u32_e32 v28, 0xfffffc10, v28
	v_and_or_b32 v27, 0x8000, v29, v27
	s_or_b32 vcc_lo, s0, vcc_lo
	v_cmp_ne_u32_e64 s1, v6, v26
	v_mul_f64 v[6:7], v[7:8], s[20:21]
	v_add_co_ci_u32_e32 v8, vcc_lo, 0, v12, vcc_lo
	v_cmp_ne_u32_e32 vcc_lo, 0, v14
	s_delay_alu instid0(VALU_DEP_4) | instskip(SKIP_2) | instid1(VALU_DEP_3)
	v_cndmask_b32_e64 v26, 0, 1, s1
	v_cndmask_b32_e64 v12, 0, 1, vcc_lo
	v_cmp_gt_i32_e32 vcc_lo, 31, v20
	v_or_b32_e32 v14, v31, v26
	v_lshl_or_b32 v26, v28, 12, v25
	s_delay_alu instid0(VALU_DEP_4)
	v_lshl_or_b32 v12, v12, 9, 0x7c00
	v_cndmask_b32_e32 v8, 0x7c00, v8, vcc_lo
	v_cmp_gt_i32_e32 vcc_lo, 1, v28
	v_and_or_b32 v4, 0x1ff, v5, v4
	v_cndmask_b32_e32 v14, v26, v14, vcc_lo
	v_cmp_eq_u32_e32 vcc_lo, 0x40f, v20
	v_mul_f64 v[18:19], v[18:19], s[20:21]
	v_bfe_u32 v26, v5, 20, 11
	s_delay_alu instid0(VALU_DEP_4)
	v_and_b32_e32 v20, 7, v14
	v_cndmask_b32_e32 v8, v8, v12, vcc_lo
	v_lshrrev_b32_e32 v12, 16, v21
	v_cmp_ne_u32_e32 vcc_lo, 0, v4
	v_lshrrev_b32_e32 v21, 8, v5
	v_cmp_eq_u32_e64 s0, 3, v20
	v_lshrrev_b32_e32 v5, 16, v5
	v_and_or_b32 v8, 0x8000, v12, v8
	v_and_b32_e32 v12, 0xffff, v27
	v_cndmask_b32_e64 v4, 0, 1, vcc_lo
	v_cmp_lt_i32_e32 vcc_lo, 5, v20
	s_delay_alu instid0(VALU_DEP_3) | instskip(SKIP_1) | instid1(VALU_DEP_4)
	v_lshl_or_b32 v12, v8, 16, v12
	v_lshrrev_b32_e32 v8, 2, v14
	v_and_or_b32 v4, 0xffe, v21, v4
	v_sub_nc_u32_e32 v21, 0x3f1, v26
	s_or_b32 vcc_lo, s0, vcc_lo
	v_and_or_b32 v6, 0x1ff, v7, v6
	v_add_co_ci_u32_e32 v8, vcc_lo, 0, v8, vcc_lo
	v_or_b32_e32 v14, 0x1000, v4
	v_med3_i32 v20, v21, 0, 13
	v_cmp_ne_u32_e32 vcc_lo, 0, v25
	v_lshrrev_b32_e32 v27, 8, v7
	v_bfe_u32 v29, v7, 20, 11
	v_lshrrev_b32_e32 v7, 16, v7
	v_lshrrev_b32_e32 v25, v20, v14
	v_cndmask_b32_e64 v21, 0, 1, vcc_lo
	v_cmp_gt_i32_e32 vcc_lo, 31, v28
	s_delay_alu instid0(VALU_DEP_3) | instskip(NEXT) | instid1(VALU_DEP_3)
	v_lshlrev_b32_e32 v20, v20, v25
	v_lshl_or_b32 v21, v21, 9, 0x7c00
	v_cndmask_b32_e32 v8, 0x7c00, v8, vcc_lo
	v_cmp_ne_u32_e32 vcc_lo, 0, v6
	v_and_or_b32 v18, 0x1ff, v19, v18
	v_cndmask_b32_e64 v6, 0, 1, vcc_lo
	v_cmp_ne_u32_e32 vcc_lo, v20, v14
	v_add_nc_u32_e32 v20, 0xfffffc10, v26
	v_sub_nc_u32_e32 v26, 0x3f1, v29
	s_delay_alu instid0(VALU_DEP_4) | instskip(SKIP_2) | instid1(VALU_DEP_4)
	v_and_or_b32 v6, 0xffe, v27, v6
	v_cndmask_b32_e64 v14, 0, 1, vcc_lo
	v_cmp_eq_u32_e32 vcc_lo, 0x40f, v28
	v_med3_i32 v26, v26, 0, 13
	v_lshrrev_b32_e32 v27, 8, v19
	v_bfe_u32 v28, v19, 20, 11
	v_or_b32_e32 v14, v25, v14
	v_cndmask_b32_e32 v8, v8, v21, vcc_lo
	v_lshl_or_b32 v21, v20, 12, v4
	v_or_b32_e32 v25, 0x1000, v6
	v_cmp_gt_i32_e32 vcc_lo, 1, v20
	s_delay_alu instid0(VALU_DEP_4) | instskip(NEXT) | instid1(VALU_DEP_4)
	v_and_or_b32 v8, 0x8000, v9, v8
	v_cndmask_b32_e32 v14, v21, v14, vcc_lo
	s_delay_alu instid0(VALU_DEP_4) | instskip(SKIP_1) | instid1(VALU_DEP_4)
	v_lshrrev_b32_e32 v21, v26, v25
	v_cmp_ne_u32_e32 vcc_lo, 0, v18
	v_and_b32_e32 v8, 0xffff, v8
	s_delay_alu instid0(VALU_DEP_4) | instskip(NEXT) | instid1(VALU_DEP_4)
	v_and_b32_e32 v30, 7, v14
	v_lshlrev_b32_e32 v26, v26, v21
	v_cndmask_b32_e64 v18, 0, 1, vcc_lo
	v_lshrrev_b32_e32 v14, 2, v14
	s_delay_alu instid0(VALU_DEP_4) | instskip(NEXT) | instid1(VALU_DEP_4)
	v_cmp_lt_i32_e32 vcc_lo, 5, v30
	v_cmp_ne_u32_e64 s0, v26, v25
	s_delay_alu instid0(VALU_DEP_4) | instskip(SKIP_2) | instid1(VALU_DEP_4)
	v_and_or_b32 v9, 0xffe, v27, v18
	v_sub_nc_u32_e32 v18, 0x3f1, v28
	v_add_nc_u32_e32 v27, 0xfffffc10, v29
	v_cndmask_b32_e64 v25, 0, 1, s0
	v_cmp_eq_u32_e64 s0, 3, v30
	v_or_b32_e32 v26, 0x1000, v9
	v_med3_i32 v18, v18, 0, 13
	v_lshl_or_b32 v29, v27, 12, v6
	v_or_b32_e32 v21, v21, v25
	s_or_b32 vcc_lo, s0, vcc_lo
	v_add_co_ci_u32_e32 v14, vcc_lo, 0, v14, vcc_lo
	v_lshrrev_b32_e32 v25, v18, v26
	v_cmp_gt_i32_e32 vcc_lo, 1, v27
	s_delay_alu instid0(VALU_DEP_2) | instskip(SKIP_3) | instid1(VALU_DEP_4)
	v_lshlrev_b32_e32 v18, v18, v25
	v_cndmask_b32_e32 v21, v29, v21, vcc_lo
	v_cmp_ne_u32_e32 vcc_lo, 0, v4
	v_cndmask_b32_e64 v4, 0, 1, vcc_lo
	v_cmp_ne_u32_e32 vcc_lo, v18, v26
	v_add_nc_u32_e32 v26, 0xfffffc10, v28
	v_and_b32_e32 v28, 7, v21
	s_delay_alu instid0(VALU_DEP_4) | instskip(SKIP_4) | instid1(VALU_DEP_4)
	v_lshl_or_b32 v4, v4, 9, 0x7c00
	v_cndmask_b32_e64 v18, 0, 1, vcc_lo
	v_cmp_gt_i32_e32 vcc_lo, 31, v20
	v_cmp_gt_i32_e64 s1, 1, v26
	v_cmp_eq_u32_e64 s0, 3, v28
	v_or_b32_e32 v18, v25, v18
	v_lshl_or_b32 v25, v26, 12, v9
	v_cndmask_b32_e32 v14, 0x7c00, v14, vcc_lo
	v_cmp_lt_i32_e32 vcc_lo, 5, v28
	s_delay_alu instid0(VALU_DEP_3) | instskip(SKIP_2) | instid1(VALU_DEP_2)
	v_cndmask_b32_e64 v18, v25, v18, s1
	v_cmp_eq_u32_e64 s1, 0x40f, v20
	s_or_b32 vcc_lo, s0, vcc_lo
	v_and_b32_e32 v20, 7, v18
	s_delay_alu instid0(VALU_DEP_2) | instskip(SKIP_4) | instid1(VALU_DEP_4)
	v_cndmask_b32_e64 v4, v14, v4, s1
	v_lshrrev_b32_e32 v14, 2, v21
	v_lshrrev_b32_e32 v18, 2, v18
	v_cmp_gt_i32_e64 s1, 31, v27
	v_cmp_eq_u32_e64 s0, 3, v20
	v_add_co_ci_u32_e32 v14, vcc_lo, 0, v14, vcc_lo
	v_cmp_ne_u32_e32 vcc_lo, 0, v6
	s_delay_alu instid0(VALU_DEP_2) | instskip(SKIP_2) | instid1(VALU_DEP_2)
	v_cndmask_b32_e64 v14, 0x7c00, v14, s1
	v_cndmask_b32_e64 v6, 0, 1, vcc_lo
	v_cmp_lt_i32_e32 vcc_lo, 5, v20
	v_lshl_or_b32 v6, v6, 9, 0x7c00
	s_or_b32 vcc_lo, s0, vcc_lo
	v_add_co_ci_u32_e32 v18, vcc_lo, 0, v18, vcc_lo
	v_cmp_ne_u32_e32 vcc_lo, 0, v9
	v_cndmask_b32_e64 v9, 0, 1, vcc_lo
	v_cmp_eq_u32_e32 vcc_lo, 0x40f, v27
	s_delay_alu instid0(VALU_DEP_2) | instskip(SKIP_2) | instid1(VALU_DEP_2)
	v_lshl_or_b32 v9, v9, 9, 0x7c00
	v_cndmask_b32_e32 v6, v14, v6, vcc_lo
	v_cmp_gt_i32_e32 vcc_lo, 31, v26
	v_and_or_b32 v6, 0x8000, v7, v6
	v_cndmask_b32_e32 v14, 0x7c00, v18, vcc_lo
	v_cmp_eq_u32_e32 vcc_lo, 0x40f, v26
	v_and_or_b32 v18, 0x8000, v5, v4
	s_delay_alu instid0(VALU_DEP_3) | instskip(SKIP_4) | instid1(VALU_DEP_4)
	v_cndmask_b32_e32 v7, v14, v9, vcc_lo
	v_lshrrev_b32_e32 v9, 16, v19
	v_add_co_u32 v4, vcc_lo, v16, s19
	v_add_co_ci_u32_e32 v5, vcc_lo, s22, v17, vcc_lo
	v_lshl_or_b32 v14, v18, 16, v8
	v_and_or_b32 v8, 0x8000, v9, v7
	v_and_b32_e32 v9, 0xffff, v6
	v_add_co_u32 v6, vcc_lo, v4, s19
	v_add_co_ci_u32_e32 v7, vcc_lo, s22, v5, vcc_lo
	s_delay_alu instid0(VALU_DEP_3) | instskip(NEXT) | instid1(VALU_DEP_3)
	v_lshl_or_b32 v18, v8, 16, v9
	v_add_co_u32 v8, vcc_lo, v6, s19
	s_delay_alu instid0(VALU_DEP_3)
	v_add_co_ci_u32_e32 v9, vcc_lo, s22, v7, vcc_lo
	global_store_b32 v[22:23], v1, off
	global_store_b32 v[16:17], v24, off
	;; [unrolled: 1-line block ×5, first 2 shown]
	global_load_b32 v1, v[2:3], off offset:3472
	v_lshrrev_b32_e32 v2, 16, v15
	s_waitcnt vmcnt(0)
	v_lshrrev_b32_e32 v3, 16, v1
	s_delay_alu instid0(VALU_DEP_1) | instskip(SKIP_1) | instid1(VALU_DEP_2)
	v_mul_f16_e32 v4, v2, v3
	v_mul_f16_e32 v3, v15, v3
	v_fmac_f16_e32 v4, v15, v1
	s_delay_alu instid0(VALU_DEP_2) | instskip(NEXT) | instid1(VALU_DEP_2)
	v_fma_f16 v1, v1, v2, -v3
	v_cvt_f32_f16_e32 v2, v4
	s_delay_alu instid0(VALU_DEP_2) | instskip(NEXT) | instid1(VALU_DEP_2)
	v_cvt_f32_f16_e32 v3, v1
	v_cvt_f64_f32_e32 v[1:2], v2
	s_delay_alu instid0(VALU_DEP_2) | instskip(NEXT) | instid1(VALU_DEP_2)
	v_cvt_f64_f32_e32 v[3:4], v3
	v_mul_f64 v[1:2], v[1:2], s[20:21]
	s_delay_alu instid0(VALU_DEP_2) | instskip(NEXT) | instid1(VALU_DEP_2)
	v_mul_f64 v[3:4], v[3:4], s[20:21]
	v_and_or_b32 v1, 0x1ff, v2, v1
	s_delay_alu instid0(VALU_DEP_2)
	v_and_or_b32 v3, 0x1ff, v4, v3
	v_lshrrev_b32_e32 v5, 8, v2
	v_bfe_u32 v6, v2, 20, 11
	v_lshrrev_b32_e32 v7, 8, v4
	v_cmp_ne_u32_e32 vcc_lo, 0, v1
	v_bfe_u32 v12, v4, 20, 11
	v_lshrrev_b32_e32 v2, 16, v2
	v_lshrrev_b32_e32 v4, 16, v4
	v_cndmask_b32_e64 v1, 0, 1, vcc_lo
	v_cmp_ne_u32_e32 vcc_lo, 0, v3
	s_delay_alu instid0(VALU_DEP_2) | instskip(SKIP_3) | instid1(VALU_DEP_4)
	v_and_or_b32 v1, 0xffe, v5, v1
	v_cndmask_b32_e64 v3, 0, 1, vcc_lo
	v_sub_nc_u32_e32 v5, 0x3f1, v6
	v_add_nc_u32_e32 v6, 0xfffffc10, v6
	v_or_b32_e32 v14, 0x1000, v1
	s_delay_alu instid0(VALU_DEP_4) | instskip(SKIP_3) | instid1(VALU_DEP_4)
	v_and_or_b32 v3, 0xffe, v7, v3
	v_sub_nc_u32_e32 v7, 0x3f1, v12
	v_med3_i32 v5, v5, 0, 13
	v_add_nc_u32_e32 v12, 0xfffffc10, v12
	v_or_b32_e32 v15, 0x1000, v3
	s_delay_alu instid0(VALU_DEP_4) | instskip(NEXT) | instid1(VALU_DEP_4)
	v_med3_i32 v7, v7, 0, 13
	v_lshrrev_b32_e32 v16, v5, v14
	s_delay_alu instid0(VALU_DEP_2) | instskip(NEXT) | instid1(VALU_DEP_2)
	v_lshrrev_b32_e32 v17, v7, v15
	v_lshlrev_b32_e32 v5, v5, v16
	s_delay_alu instid0(VALU_DEP_2) | instskip(NEXT) | instid1(VALU_DEP_2)
	v_lshlrev_b32_e32 v7, v7, v17
	v_cmp_ne_u32_e32 vcc_lo, v5, v14
	v_lshl_or_b32 v14, v6, 12, v1
	v_cndmask_b32_e64 v5, 0, 1, vcc_lo
	s_delay_alu instid0(VALU_DEP_4) | instskip(SKIP_1) | instid1(VALU_DEP_3)
	v_cmp_ne_u32_e32 vcc_lo, v7, v15
	v_lshl_or_b32 v15, v12, 12, v3
	v_or_b32_e32 v5, v16, v5
	v_cndmask_b32_e64 v7, 0, 1, vcc_lo
	v_cmp_gt_i32_e32 vcc_lo, 1, v6
	s_delay_alu instid0(VALU_DEP_2) | instskip(NEXT) | instid1(VALU_DEP_4)
	v_or_b32_e32 v7, v17, v7
	v_cndmask_b32_e32 v5, v14, v5, vcc_lo
	v_cmp_gt_i32_e32 vcc_lo, 1, v12
	s_delay_alu instid0(VALU_DEP_2) | instskip(SKIP_1) | instid1(VALU_DEP_2)
	v_dual_cndmask_b32 v7, v15, v7 :: v_dual_and_b32 v14, 7, v5
	v_lshrrev_b32_e32 v5, 2, v5
	v_cmp_lt_i32_e32 vcc_lo, 5, v14
	v_cmp_eq_u32_e64 s0, 3, v14
	s_delay_alu instid0(VALU_DEP_4) | instskip(SKIP_1) | instid1(VALU_DEP_3)
	v_and_b32_e32 v15, 7, v7
	v_lshrrev_b32_e32 v7, 2, v7
	s_or_b32 vcc_lo, s0, vcc_lo
	s_delay_alu instid0(VALU_DEP_2) | instskip(SKIP_4) | instid1(VALU_DEP_3)
	v_cmp_lt_i32_e64 s1, 5, v15
	v_add_co_ci_u32_e32 v5, vcc_lo, 0, v5, vcc_lo
	v_cmp_eq_u32_e64 s2, 3, v15
	v_cmp_ne_u32_e32 vcc_lo, 0, v1
	v_cndmask_b32_e64 v1, 0, 1, vcc_lo
	s_or_b32 vcc_lo, s2, s1
	v_add_co_ci_u32_e32 v7, vcc_lo, 0, v7, vcc_lo
	v_cmp_ne_u32_e32 vcc_lo, 0, v3
	s_delay_alu instid0(VALU_DEP_3) | instskip(SKIP_2) | instid1(VALU_DEP_2)
	v_lshl_or_b32 v1, v1, 9, 0x7c00
	v_cndmask_b32_e64 v3, 0, 1, vcc_lo
	v_cmp_gt_i32_e32 vcc_lo, 31, v6
	v_lshl_or_b32 v3, v3, 9, 0x7c00
	v_cndmask_b32_e32 v5, 0x7c00, v5, vcc_lo
	v_cmp_gt_i32_e32 vcc_lo, 31, v12
	v_cndmask_b32_e32 v7, 0x7c00, v7, vcc_lo
	v_cmp_eq_u32_e32 vcc_lo, 0x40f, v6
	s_delay_alu instid0(VALU_DEP_4) | instskip(SKIP_1) | instid1(VALU_DEP_2)
	v_cndmask_b32_e32 v1, v5, v1, vcc_lo
	v_cmp_eq_u32_e32 vcc_lo, 0x40f, v12
	v_and_or_b32 v1, 0x8000, v2, v1
	v_cndmask_b32_e32 v3, v7, v3, vcc_lo
	s_delay_alu instid0(VALU_DEP_2) | instskip(NEXT) | instid1(VALU_DEP_2)
	v_and_b32_e32 v1, 0xffff, v1
	v_and_or_b32 v2, 0x8000, v4, v3
	s_delay_alu instid0(VALU_DEP_1)
	v_lshl_or_b32 v5, v2, 16, v1
	v_add_co_u32 v1, vcc_lo, v8, s19
	v_add_co_ci_u32_e32 v2, vcc_lo, s22, v9, vcc_lo
	v_add_co_u32 v3, vcc_lo, 0x3000, v10
	v_add_co_ci_u32_e32 v4, vcc_lo, 0, v11, vcc_lo
	global_store_b32 v[1:2], v5, off
	ds_load_2addr_b32 v[5:6], v0 offset0:7 offset1:250
	global_load_b32 v7, v[3:4], off offset:348
	s_waitcnt lgkmcnt(0)
	v_lshrrev_b32_e32 v0, 16, v5
	s_waitcnt vmcnt(0)
	v_lshrrev_b32_e32 v8, 16, v7
	s_delay_alu instid0(VALU_DEP_1) | instskip(SKIP_1) | instid1(VALU_DEP_2)
	v_mul_f16_e32 v9, v0, v8
	v_mul_f16_e32 v8, v5, v8
	v_fmac_f16_e32 v9, v5, v7
	s_delay_alu instid0(VALU_DEP_2) | instskip(NEXT) | instid1(VALU_DEP_2)
	v_fma_f16 v0, v7, v0, -v8
	v_cvt_f32_f16_e32 v5, v9
	s_delay_alu instid0(VALU_DEP_2) | instskip(NEXT) | instid1(VALU_DEP_2)
	v_cvt_f32_f16_e32 v0, v0
	v_cvt_f64_f32_e32 v[7:8], v5
	s_delay_alu instid0(VALU_DEP_2) | instskip(NEXT) | instid1(VALU_DEP_2)
	v_cvt_f64_f32_e32 v[9:10], v0
	v_mul_f64 v[7:8], v[7:8], s[20:21]
	s_delay_alu instid0(VALU_DEP_2) | instskip(NEXT) | instid1(VALU_DEP_2)
	v_mul_f64 v[9:10], v[9:10], s[20:21]
	v_and_or_b32 v0, 0x1ff, v8, v7
	s_delay_alu instid0(VALU_DEP_2)
	v_and_or_b32 v9, 0x1ff, v10, v9
	v_lshrrev_b32_e32 v5, 8, v8
	v_bfe_u32 v7, v8, 20, 11
	v_lshrrev_b32_e32 v11, 8, v10
	v_cmp_ne_u32_e32 vcc_lo, 0, v0
	v_bfe_u32 v12, v10, 20, 11
	v_lshrrev_b32_e32 v8, 16, v8
	v_sub_nc_u32_e32 v14, 0x3f1, v7
	v_add_nc_u32_e32 v7, 0xfffffc10, v7
	v_cndmask_b32_e64 v0, 0, 1, vcc_lo
	v_cmp_ne_u32_e32 vcc_lo, 0, v9
	s_delay_alu instid0(VALU_DEP_2) | instskip(SKIP_3) | instid1(VALU_DEP_3)
	v_and_or_b32 v0, 0xffe, v5, v0
	v_cndmask_b32_e64 v9, 0, 1, vcc_lo
	v_sub_nc_u32_e32 v5, 0x3f1, v12
	v_add_nc_u32_e32 v12, 0xfffffc10, v12
	v_and_or_b32 v9, 0xffe, v11, v9
	v_med3_i32 v11, v14, 0, 13
	v_or_b32_e32 v14, 0x1000, v0
	v_med3_i32 v5, v5, 0, 13
	s_delay_alu instid0(VALU_DEP_4) | instskip(NEXT) | instid1(VALU_DEP_3)
	v_or_b32_e32 v15, 0x1000, v9
	v_lshrrev_b32_e32 v16, v11, v14
	s_delay_alu instid0(VALU_DEP_2) | instskip(NEXT) | instid1(VALU_DEP_2)
	v_lshrrev_b32_e32 v17, v5, v15
	v_lshlrev_b32_e32 v11, v11, v16
	s_delay_alu instid0(VALU_DEP_2) | instskip(NEXT) | instid1(VALU_DEP_2)
	v_lshlrev_b32_e32 v5, v5, v17
	v_cmp_ne_u32_e32 vcc_lo, v11, v14
	v_lshl_or_b32 v14, v7, 12, v0
	v_cndmask_b32_e64 v11, 0, 1, vcc_lo
	s_delay_alu instid0(VALU_DEP_4) | instskip(SKIP_1) | instid1(VALU_DEP_3)
	v_cmp_ne_u32_e32 vcc_lo, v5, v15
	v_lshl_or_b32 v15, v12, 12, v9
	v_or_b32_e32 v11, v16, v11
	v_cndmask_b32_e64 v5, 0, 1, vcc_lo
	v_cmp_gt_i32_e32 vcc_lo, 1, v7
	s_delay_alu instid0(VALU_DEP_2) | instskip(NEXT) | instid1(VALU_DEP_4)
	v_or_b32_e32 v5, v17, v5
	v_cndmask_b32_e32 v11, v14, v11, vcc_lo
	v_cmp_gt_i32_e32 vcc_lo, 1, v12
	s_delay_alu instid0(VALU_DEP_2) | instskip(SKIP_2) | instid1(VALU_DEP_3)
	v_dual_cndmask_b32 v5, v15, v5 :: v_dual_and_b32 v14, 7, v11
	v_cmp_ne_u32_e32 vcc_lo, 0, v0
	v_lshrrev_b32_e32 v11, 2, v11
	v_cmp_eq_u32_e64 s0, 3, v14
	s_delay_alu instid0(VALU_DEP_4) | instskip(SKIP_3) | instid1(VALU_DEP_4)
	v_and_b32_e32 v15, 7, v5
	v_cndmask_b32_e64 v0, 0, 1, vcc_lo
	v_cmp_ne_u32_e32 vcc_lo, 0, v9
	v_lshrrev_b32_e32 v5, 2, v5
	v_cmp_lt_i32_e64 s1, 5, v15
	v_cmp_eq_u32_e64 s2, 3, v15
	v_cndmask_b32_e64 v9, 0, 1, vcc_lo
	v_cmp_lt_i32_e32 vcc_lo, 5, v14
	v_lshl_or_b32 v0, v0, 9, 0x7c00
	s_delay_alu instid0(VALU_DEP_3)
	v_lshl_or_b32 v9, v9, 9, 0x7c00
	s_or_b32 vcc_lo, s0, vcc_lo
	v_add_co_ci_u32_e32 v11, vcc_lo, 0, v11, vcc_lo
	s_or_b32 vcc_lo, s2, s1
	v_add_co_ci_u32_e32 v5, vcc_lo, 0, v5, vcc_lo
	v_cmp_gt_i32_e32 vcc_lo, 31, v7
	s_delay_alu instid0(VALU_DEP_3) | instskip(SKIP_1) | instid1(VALU_DEP_4)
	v_cndmask_b32_e32 v11, 0x7c00, v11, vcc_lo
	v_cmp_gt_i32_e32 vcc_lo, 31, v12
	v_cndmask_b32_e32 v5, 0x7c00, v5, vcc_lo
	v_cmp_eq_u32_e32 vcc_lo, 0x40f, v7
	v_lshrrev_b32_e32 v7, 16, v10
	v_cndmask_b32_e32 v0, v11, v0, vcc_lo
	v_cmp_eq_u32_e32 vcc_lo, 0x40f, v12
	s_delay_alu instid0(VALU_DEP_2) | instskip(SKIP_1) | instid1(VALU_DEP_1)
	v_and_or_b32 v0, 0x8000, v8, v0
	v_cndmask_b32_e32 v5, v5, v9, vcc_lo
	v_and_or_b32 v5, 0x8000, v7, v5
	s_delay_alu instid0(VALU_DEP_3) | instskip(SKIP_2) | instid1(VALU_DEP_3)
	v_and_b32_e32 v7, 0xffff, v0
	v_add_co_u32 v0, vcc_lo, v1, s19
	v_add_co_ci_u32_e32 v1, vcc_lo, s22, v2, vcc_lo
	v_lshl_or_b32 v2, v5, 16, v7
	v_lshrrev_b32_e32 v5, 16, v6
	global_store_b32 v[0:1], v2, off
	global_load_b32 v2, v[3:4], off offset:1320
	s_waitcnt vmcnt(0)
	v_lshrrev_b32_e32 v7, 16, v2
	s_delay_alu instid0(VALU_DEP_1) | instskip(SKIP_1) | instid1(VALU_DEP_2)
	v_mul_f16_e32 v8, v5, v7
	v_mul_f16_e32 v7, v6, v7
	v_fmac_f16_e32 v8, v6, v2
	s_delay_alu instid0(VALU_DEP_2) | instskip(NEXT) | instid1(VALU_DEP_2)
	v_fma_f16 v2, v2, v5, -v7
	v_cvt_f32_f16_e32 v5, v8
	s_delay_alu instid0(VALU_DEP_2) | instskip(NEXT) | instid1(VALU_DEP_2)
	v_cvt_f32_f16_e32 v2, v2
	v_cvt_f64_f32_e32 v[5:6], v5
	s_delay_alu instid0(VALU_DEP_2) | instskip(NEXT) | instid1(VALU_DEP_2)
	v_cvt_f64_f32_e32 v[7:8], v2
	v_mul_f64 v[5:6], v[5:6], s[20:21]
	s_delay_alu instid0(VALU_DEP_2) | instskip(NEXT) | instid1(VALU_DEP_2)
	v_mul_f64 v[7:8], v[7:8], s[20:21]
	v_and_or_b32 v2, 0x1ff, v6, v5
	s_delay_alu instid0(VALU_DEP_2)
	v_and_or_b32 v7, 0x1ff, v8, v7
	v_lshrrev_b32_e32 v5, 8, v6
	v_bfe_u32 v9, v6, 20, 11
	v_lshrrev_b32_e32 v10, 8, v8
	v_cmp_ne_u32_e32 vcc_lo, 0, v2
	v_bfe_u32 v11, v8, 20, 11
	v_lshrrev_b32_e32 v6, 16, v6
	v_sub_nc_u32_e32 v12, 0x3f1, v9
	v_add_nc_u32_e32 v9, 0xfffffc10, v9
	v_cndmask_b32_e64 v2, 0, 1, vcc_lo
	v_cmp_ne_u32_e32 vcc_lo, 0, v7
	v_lshrrev_b32_e32 v8, 16, v8
	s_delay_alu instid0(VALU_DEP_3) | instskip(SKIP_3) | instid1(VALU_DEP_3)
	v_and_or_b32 v2, 0xffe, v5, v2
	v_cndmask_b32_e64 v7, 0, 1, vcc_lo
	v_sub_nc_u32_e32 v5, 0x3f1, v11
	v_add_nc_u32_e32 v11, 0xfffffc10, v11
	v_and_or_b32 v7, 0xffe, v10, v7
	v_med3_i32 v10, v12, 0, 13
	v_or_b32_e32 v12, 0x1000, v2
	v_med3_i32 v5, v5, 0, 13
	s_delay_alu instid0(VALU_DEP_4) | instskip(NEXT) | instid1(VALU_DEP_3)
	v_or_b32_e32 v14, 0x1000, v7
	v_lshrrev_b32_e32 v15, v10, v12
	s_delay_alu instid0(VALU_DEP_2) | instskip(NEXT) | instid1(VALU_DEP_2)
	v_lshrrev_b32_e32 v16, v5, v14
	v_lshlrev_b32_e32 v10, v10, v15
	s_delay_alu instid0(VALU_DEP_2) | instskip(NEXT) | instid1(VALU_DEP_2)
	v_lshlrev_b32_e32 v5, v5, v16
	v_cmp_ne_u32_e32 vcc_lo, v10, v12
	v_lshl_or_b32 v12, v9, 12, v2
	v_cndmask_b32_e64 v10, 0, 1, vcc_lo
	s_delay_alu instid0(VALU_DEP_4) | instskip(SKIP_1) | instid1(VALU_DEP_3)
	v_cmp_ne_u32_e32 vcc_lo, v5, v14
	v_lshl_or_b32 v14, v11, 12, v7
	v_or_b32_e32 v10, v15, v10
	v_cndmask_b32_e64 v5, 0, 1, vcc_lo
	v_cmp_gt_i32_e32 vcc_lo, 1, v9
	s_delay_alu instid0(VALU_DEP_2) | instskip(NEXT) | instid1(VALU_DEP_4)
	v_or_b32_e32 v5, v16, v5
	v_cndmask_b32_e32 v10, v12, v10, vcc_lo
	v_cmp_gt_i32_e32 vcc_lo, 1, v11
	s_delay_alu instid0(VALU_DEP_2) | instskip(SKIP_2) | instid1(VALU_DEP_3)
	v_dual_cndmask_b32 v5, v14, v5 :: v_dual_and_b32 v12, 7, v10
	v_cmp_ne_u32_e32 vcc_lo, 0, v2
	v_lshrrev_b32_e32 v10, 2, v10
	v_cmp_eq_u32_e64 s0, 3, v12
	s_delay_alu instid0(VALU_DEP_4) | instskip(SKIP_3) | instid1(VALU_DEP_4)
	v_and_b32_e32 v14, 7, v5
	v_cndmask_b32_e64 v2, 0, 1, vcc_lo
	v_cmp_ne_u32_e32 vcc_lo, 0, v7
	v_lshrrev_b32_e32 v5, 2, v5
	v_cmp_lt_i32_e64 s1, 5, v14
	v_cmp_eq_u32_e64 s2, 3, v14
	v_cndmask_b32_e64 v7, 0, 1, vcc_lo
	v_cmp_lt_i32_e32 vcc_lo, 5, v12
	v_lshl_or_b32 v2, v2, 9, 0x7c00
	s_delay_alu instid0(VALU_DEP_3)
	v_lshl_or_b32 v7, v7, 9, 0x7c00
	s_or_b32 vcc_lo, s0, vcc_lo
	v_add_co_ci_u32_e32 v10, vcc_lo, 0, v10, vcc_lo
	s_or_b32 vcc_lo, s2, s1
	v_add_co_ci_u32_e32 v5, vcc_lo, 0, v5, vcc_lo
	v_cmp_gt_i32_e32 vcc_lo, 31, v9
	s_delay_alu instid0(VALU_DEP_3) | instskip(SKIP_1) | instid1(VALU_DEP_4)
	v_cndmask_b32_e32 v10, 0x7c00, v10, vcc_lo
	v_cmp_gt_i32_e32 vcc_lo, 31, v11
	v_cndmask_b32_e32 v5, 0x7c00, v5, vcc_lo
	v_cmp_eq_u32_e32 vcc_lo, 0x40f, v9
	s_delay_alu instid0(VALU_DEP_4) | instskip(SKIP_1) | instid1(VALU_DEP_2)
	v_cndmask_b32_e32 v2, v10, v2, vcc_lo
	v_cmp_eq_u32_e32 vcc_lo, 0x40f, v11
	v_and_or_b32 v2, 0x8000, v6, v2
	v_cndmask_b32_e32 v5, v5, v7, vcc_lo
	v_add_co_u32 v0, vcc_lo, v0, s19
	v_add_co_ci_u32_e32 v1, vcc_lo, s22, v1, vcc_lo
	s_delay_alu instid0(VALU_DEP_3) | instskip(SKIP_1) | instid1(VALU_DEP_1)
	v_and_or_b32 v5, 0x8000, v8, v5
	v_and_b32_e32 v2, 0xffff, v2
	v_lshl_or_b32 v2, v5, 16, v2
	global_store_b32 v[0:1], v2, off
	global_load_b32 v2, v[3:4], off offset:2292
	v_lshrrev_b32_e32 v3, 16, v13
	s_waitcnt vmcnt(0)
	v_lshrrev_b32_e32 v4, 16, v2
	s_delay_alu instid0(VALU_DEP_1) | instskip(SKIP_1) | instid1(VALU_DEP_2)
	v_mul_f16_e32 v5, v3, v4
	v_mul_f16_e32 v4, v13, v4
	v_fmac_f16_e32 v5, v13, v2
	s_delay_alu instid0(VALU_DEP_2) | instskip(NEXT) | instid1(VALU_DEP_2)
	v_fma_f16 v2, v2, v3, -v4
	v_cvt_f32_f16_e32 v3, v5
	s_delay_alu instid0(VALU_DEP_2) | instskip(NEXT) | instid1(VALU_DEP_2)
	v_cvt_f32_f16_e32 v4, v2
	v_cvt_f64_f32_e32 v[2:3], v3
	s_delay_alu instid0(VALU_DEP_2) | instskip(NEXT) | instid1(VALU_DEP_2)
	v_cvt_f64_f32_e32 v[4:5], v4
	v_mul_f64 v[2:3], v[2:3], s[20:21]
	s_delay_alu instid0(VALU_DEP_2) | instskip(NEXT) | instid1(VALU_DEP_2)
	v_mul_f64 v[4:5], v[4:5], s[20:21]
	v_and_or_b32 v2, 0x1ff, v3, v2
	s_delay_alu instid0(VALU_DEP_2)
	v_and_or_b32 v4, 0x1ff, v5, v4
	v_lshrrev_b32_e32 v6, 8, v3
	v_bfe_u32 v7, v3, 20, 11
	v_lshrrev_b32_e32 v8, 8, v5
	v_cmp_ne_u32_e32 vcc_lo, 0, v2
	v_bfe_u32 v9, v5, 20, 11
	v_lshrrev_b32_e32 v3, 16, v3
	v_sub_nc_u32_e32 v10, 0x3f1, v7
	v_add_nc_u32_e32 v7, 0xfffffc10, v7
	v_cndmask_b32_e64 v2, 0, 1, vcc_lo
	v_cmp_ne_u32_e32 vcc_lo, 0, v4
	v_lshrrev_b32_e32 v5, 16, v5
	s_delay_alu instid0(VALU_DEP_3) | instskip(SKIP_3) | instid1(VALU_DEP_3)
	v_and_or_b32 v2, 0xffe, v6, v2
	v_cndmask_b32_e64 v4, 0, 1, vcc_lo
	v_sub_nc_u32_e32 v6, 0x3f1, v9
	v_add_nc_u32_e32 v9, 0xfffffc10, v9
	v_and_or_b32 v4, 0xffe, v8, v4
	v_med3_i32 v8, v10, 0, 13
	v_or_b32_e32 v10, 0x1000, v2
	v_med3_i32 v6, v6, 0, 13
	s_delay_alu instid0(VALU_DEP_4) | instskip(NEXT) | instid1(VALU_DEP_3)
	v_or_b32_e32 v11, 0x1000, v4
	v_lshrrev_b32_e32 v12, v8, v10
	s_delay_alu instid0(VALU_DEP_2) | instskip(NEXT) | instid1(VALU_DEP_2)
	v_lshrrev_b32_e32 v13, v6, v11
	v_lshlrev_b32_e32 v8, v8, v12
	s_delay_alu instid0(VALU_DEP_2) | instskip(NEXT) | instid1(VALU_DEP_2)
	v_lshlrev_b32_e32 v6, v6, v13
	v_cmp_ne_u32_e32 vcc_lo, v8, v10
	v_lshl_or_b32 v10, v7, 12, v2
	v_cndmask_b32_e64 v8, 0, 1, vcc_lo
	s_delay_alu instid0(VALU_DEP_4) | instskip(SKIP_1) | instid1(VALU_DEP_3)
	v_cmp_ne_u32_e32 vcc_lo, v6, v11
	v_lshl_or_b32 v11, v9, 12, v4
	v_or_b32_e32 v8, v12, v8
	v_cndmask_b32_e64 v6, 0, 1, vcc_lo
	v_cmp_gt_i32_e32 vcc_lo, 1, v7
	s_delay_alu instid0(VALU_DEP_2) | instskip(NEXT) | instid1(VALU_DEP_4)
	v_or_b32_e32 v6, v13, v6
	v_cndmask_b32_e32 v8, v10, v8, vcc_lo
	v_cmp_gt_i32_e32 vcc_lo, 1, v9
	s_delay_alu instid0(VALU_DEP_2) | instskip(NEXT) | instid1(VALU_DEP_4)
	v_and_b32_e32 v10, 7, v8
	v_cndmask_b32_e32 v6, v11, v6, vcc_lo
	v_cmp_ne_u32_e32 vcc_lo, 0, v2
	v_lshrrev_b32_e32 v8, 2, v8
	s_delay_alu instid0(VALU_DEP_4) | instskip(NEXT) | instid1(VALU_DEP_4)
	v_cmp_eq_u32_e64 s0, 3, v10
	v_and_b32_e32 v11, 7, v6
	v_cndmask_b32_e64 v2, 0, 1, vcc_lo
	v_cmp_ne_u32_e32 vcc_lo, 0, v4
	v_lshrrev_b32_e32 v6, 2, v6
	s_delay_alu instid0(VALU_DEP_4) | instskip(SKIP_4) | instid1(VALU_DEP_3)
	v_cmp_lt_i32_e64 s1, 5, v11
	v_cmp_eq_u32_e64 s2, 3, v11
	v_cndmask_b32_e64 v4, 0, 1, vcc_lo
	v_cmp_lt_i32_e32 vcc_lo, 5, v10
	v_lshl_or_b32 v2, v2, 9, 0x7c00
	v_lshl_or_b32 v4, v4, 9, 0x7c00
	s_or_b32 vcc_lo, s0, vcc_lo
	v_add_co_ci_u32_e32 v8, vcc_lo, 0, v8, vcc_lo
	s_or_b32 vcc_lo, s2, s1
	v_add_co_ci_u32_e32 v6, vcc_lo, 0, v6, vcc_lo
	v_cmp_gt_i32_e32 vcc_lo, 31, v7
	s_delay_alu instid0(VALU_DEP_3) | instskip(SKIP_1) | instid1(VALU_DEP_4)
	v_cndmask_b32_e32 v8, 0x7c00, v8, vcc_lo
	v_cmp_gt_i32_e32 vcc_lo, 31, v9
	v_cndmask_b32_e32 v6, 0x7c00, v6, vcc_lo
	v_cmp_eq_u32_e32 vcc_lo, 0x40f, v7
	s_delay_alu instid0(VALU_DEP_4) | instskip(SKIP_1) | instid1(VALU_DEP_2)
	v_cndmask_b32_e32 v2, v8, v2, vcc_lo
	v_cmp_eq_u32_e32 vcc_lo, 0x40f, v9
	v_and_or_b32 v2, 0x8000, v3, v2
	v_cndmask_b32_e32 v4, v6, v4, vcc_lo
	v_add_co_u32 v0, vcc_lo, v0, s19
	v_add_co_ci_u32_e32 v1, vcc_lo, s22, v1, vcc_lo
	s_delay_alu instid0(VALU_DEP_3) | instskip(SKIP_1) | instid1(VALU_DEP_1)
	v_and_or_b32 v3, 0x8000, v5, v4
	v_and_b32_e32 v2, 0xffff, v2
	v_lshl_or_b32 v2, v3, 16, v2
	global_store_b32 v[0:1], v2, off
.LBB0_15:
	s_nop 0
	s_sendmsg sendmsg(MSG_DEALLOC_VGPRS)
	s_endpgm
	.section	.rodata,"a",@progbits
	.p2align	6, 0x0
	.amdhsa_kernel bluestein_single_back_len3888_dim1_half_op_CI_CI
		.amdhsa_group_segment_fixed_size 15552
		.amdhsa_private_segment_fixed_size 0
		.amdhsa_kernarg_size 104
		.amdhsa_user_sgpr_count 15
		.amdhsa_user_sgpr_dispatch_ptr 0
		.amdhsa_user_sgpr_queue_ptr 0
		.amdhsa_user_sgpr_kernarg_segment_ptr 1
		.amdhsa_user_sgpr_dispatch_id 0
		.amdhsa_user_sgpr_private_segment_size 0
		.amdhsa_wavefront_size32 1
		.amdhsa_uses_dynamic_stack 0
		.amdhsa_enable_private_segment 0
		.amdhsa_system_sgpr_workgroup_id_x 1
		.amdhsa_system_sgpr_workgroup_id_y 0
		.amdhsa_system_sgpr_workgroup_id_z 0
		.amdhsa_system_sgpr_workgroup_info 0
		.amdhsa_system_vgpr_workitem_id 0
		.amdhsa_next_free_vgpr 160
		.amdhsa_next_free_sgpr 23
		.amdhsa_reserve_vcc 1
		.amdhsa_float_round_mode_32 0
		.amdhsa_float_round_mode_16_64 0
		.amdhsa_float_denorm_mode_32 3
		.amdhsa_float_denorm_mode_16_64 3
		.amdhsa_dx10_clamp 1
		.amdhsa_ieee_mode 1
		.amdhsa_fp16_overflow 0
		.amdhsa_workgroup_processor_mode 1
		.amdhsa_memory_ordered 1
		.amdhsa_forward_progress 0
		.amdhsa_shared_vgpr_count 0
		.amdhsa_exception_fp_ieee_invalid_op 0
		.amdhsa_exception_fp_denorm_src 0
		.amdhsa_exception_fp_ieee_div_zero 0
		.amdhsa_exception_fp_ieee_overflow 0
		.amdhsa_exception_fp_ieee_underflow 0
		.amdhsa_exception_fp_ieee_inexact 0
		.amdhsa_exception_int_div_zero 0
	.end_amdhsa_kernel
	.text
.Lfunc_end0:
	.size	bluestein_single_back_len3888_dim1_half_op_CI_CI, .Lfunc_end0-bluestein_single_back_len3888_dim1_half_op_CI_CI
                                        ; -- End function
	.section	.AMDGPU.csdata,"",@progbits
; Kernel info:
; codeLenInByte = 26144
; NumSgprs: 25
; NumVgprs: 160
; ScratchSize: 0
; MemoryBound: 0
; FloatMode: 240
; IeeeMode: 1
; LDSByteSize: 15552 bytes/workgroup (compile time only)
; SGPRBlocks: 3
; VGPRBlocks: 19
; NumSGPRsForWavesPerEU: 25
; NumVGPRsForWavesPerEU: 160
; Occupancy: 9
; WaveLimiterHint : 1
; COMPUTE_PGM_RSRC2:SCRATCH_EN: 0
; COMPUTE_PGM_RSRC2:USER_SGPR: 15
; COMPUTE_PGM_RSRC2:TRAP_HANDLER: 0
; COMPUTE_PGM_RSRC2:TGID_X_EN: 1
; COMPUTE_PGM_RSRC2:TGID_Y_EN: 0
; COMPUTE_PGM_RSRC2:TGID_Z_EN: 0
; COMPUTE_PGM_RSRC2:TIDIG_COMP_CNT: 0
	.text
	.p2alignl 7, 3214868480
	.fill 96, 4, 3214868480
	.type	__hip_cuid_61ee78b986fa4ce0,@object ; @__hip_cuid_61ee78b986fa4ce0
	.section	.bss,"aw",@nobits
	.globl	__hip_cuid_61ee78b986fa4ce0
__hip_cuid_61ee78b986fa4ce0:
	.byte	0                               ; 0x0
	.size	__hip_cuid_61ee78b986fa4ce0, 1

	.ident	"AMD clang version 19.0.0git (https://github.com/RadeonOpenCompute/llvm-project roc-6.4.0 25133 c7fe45cf4b819c5991fe208aaa96edf142730f1d)"
	.section	".note.GNU-stack","",@progbits
	.addrsig
	.addrsig_sym __hip_cuid_61ee78b986fa4ce0
	.amdgpu_metadata
---
amdhsa.kernels:
  - .args:
      - .actual_access:  read_only
        .address_space:  global
        .offset:         0
        .size:           8
        .value_kind:     global_buffer
      - .actual_access:  read_only
        .address_space:  global
        .offset:         8
        .size:           8
        .value_kind:     global_buffer
      - .actual_access:  read_only
        .address_space:  global
        .offset:         16
        .size:           8
        .value_kind:     global_buffer
      - .actual_access:  read_only
        .address_space:  global
        .offset:         24
        .size:           8
        .value_kind:     global_buffer
      - .actual_access:  read_only
        .address_space:  global
        .offset:         32
        .size:           8
        .value_kind:     global_buffer
      - .offset:         40
        .size:           8
        .value_kind:     by_value
      - .address_space:  global
        .offset:         48
        .size:           8
        .value_kind:     global_buffer
      - .address_space:  global
        .offset:         56
        .size:           8
        .value_kind:     global_buffer
      - .address_space:  global
        .offset:         64
        .size:           8
        .value_kind:     global_buffer
      - .address_space:  global
        .offset:         72
        .size:           8
        .value_kind:     global_buffer
      - .offset:         80
        .size:           4
        .value_kind:     by_value
      - .address_space:  global
        .offset:         88
        .size:           8
        .value_kind:     global_buffer
      - .address_space:  global
        .offset:         96
        .size:           8
        .value_kind:     global_buffer
    .group_segment_fixed_size: 15552
    .kernarg_segment_align: 8
    .kernarg_segment_size: 104
    .language:       OpenCL C
    .language_version:
      - 2
      - 0
    .max_flat_workgroup_size: 324
    .name:           bluestein_single_back_len3888_dim1_half_op_CI_CI
    .private_segment_fixed_size: 0
    .sgpr_count:     25
    .sgpr_spill_count: 0
    .symbol:         bluestein_single_back_len3888_dim1_half_op_CI_CI.kd
    .uniform_work_group_size: 1
    .uses_dynamic_stack: false
    .vgpr_count:     160
    .vgpr_spill_count: 0
    .wavefront_size: 32
    .workgroup_processor_mode: 1
amdhsa.target:   amdgcn-amd-amdhsa--gfx1100
amdhsa.version:
  - 1
  - 2
...

	.end_amdgpu_metadata
